;; amdgpu-corpus repo=ROCm/aiter kind=harvested arch=n/a opt=n/a

/root/src/amdgpu-assembly/repos/ROCm__aiter/hsa/gfx950/fmoe/silu/fmoe_fp16_pertokenFp8_g1u1_vs_silu_1tg_ps_32x384.co:	file format elf64-amdgpu

Disassembly of section .text:

0000000000002e00 <_ZN5aiter48fmoe_fp16_pertokenFp8_g1u1_vs_silu_1tg_ps_32x384E>:
	v_lshrrev_b32_e32 v1, 10, v0                               // 000000002E00: 2002008A
	v_lshrrev_b32_e32 v2, 10, v1                               // 000000002E04: 2004028A
	v_and_b32_e32 v2, 0x3ff, v2                                // 000000002E08: 260404FF 000003FF
	v_and_b32_e32 v1, 0x3ff, v1                                // 000000002E10: 260202FF 000003FF
	v_and_b32_e32 v0, 0x3ff, v0                                // 000000002E18: 260000FF 000003FF
	v_lshrrev_b32_e32 v3, 6, v0                                // 000000002E20: 20060086
	v_and_b32_e32 v0, 63, v0                                   // 000000002E24: 260000BF
	s_mov_b32 s2, s2                                           // 000000002E28: BE820002
	s_mov_b32 s3, s3                                           // 000000002E2C: BE830003
	s_mov_b32 s4, s4                                           // 000000002E30: BE840004
	s_mov_b32 s99, s2                                          // 000000002E34: BEE30002
	v_readfirstlane_b32 s7, v3                                 // 000000002E38: 7E0E0503
	s_and_b32 s1, s1, 0xffff                                   // 000000002E3C: 8601FF01 0000FFFF
	s_mov_b32 s96, 0                                           // 000000002E44: BEE00080
	s_mov_b32 s97, 0                                           // 000000002E48: BEE10080
	s_mov_b32 s100, 0                                          // 000000002E4C: BEE40080
	s_load_dword s96, s[0:1], 0x1a0                            // 000000002E50: C0021800 000001A0
	s_load_dword s97, s[0:1], 0x1b0                            // 000000002E58: C0021840 000001B0
	s_waitcnt lgkmcnt(0)                                       // 000000002E60: BF8CC07F
	s_cmp_eq_u32 s96, 0                                        // 000000002E64: BF068060
	s_cbranch_scc1 label_005C                                  // 000000002E68: BF850041
	v_cvt_f32_u32_e32 v50, s97                                 // 000000002E6C: 7E640C61
	s_sub_i32 s60, 0, s97                                      // 000000002E70: 81BC6180
	v_rcp_iflag_f32_e32 v50, v50                               // 000000002E74: 7E644732
	s_nop 0                                                    // 000000002E78: BF800000
	v_mul_f32_e32 v50, 0x4f7ffffe, v50                         // 000000002E7C: 0A6464FF 4F7FFFFE
	v_cvt_u32_f32_e32 v50, v50                                 // 000000002E84: 7E640F32
	v_mul_lo_u32 v51, s60, v50                                 // 000000002E88: D2850033 0002643C
	v_mul_hi_u32 v51, v50, v51                                 // 000000002E90: D2860033 00026732
	v_add_u32_e32 v50, v50, v51                                // 000000002E98: 68646732
	v_mul_hi_u32 v50, s96, v50                                 // 000000002E9C: D2860032 00026460
	v_mul_lo_u32 v51, v50, s97                                 // 000000002EA4: D2850033 0000C332
	v_sub_u32_e32 v53, s96, v51                                // 000000002EAC: 6A6A6660
	v_add_u32_e32 v52, 1, v50                                  // 000000002EB0: 68686481
	v_cmp_le_u32_e32 vcc, s97, v53                             // 000000002EB4: 7D966A61
	v_subrev_u32_e32 v51, s97, v53                             // 000000002EB8: 6C666A61
	s_nop 0                                                    // 000000002EBC: BF800000
	v_cndmask_b32_e32 v50, v50, v52, vcc                       // 000000002EC0: 00646932
	v_cndmask_b32_e32 v53, v53, v51, vcc                       // 000000002EC4: 006A6735
	v_add_u32_e32 v51, 1, v50                                  // 000000002EC8: 68666481
	v_cmp_le_u32_e32 vcc, s97, v53                             // 000000002ECC: 7D966A61
	s_nop 1                                                    // 000000002ED0: BF800001
	v_cndmask_b32_e32 v53, v50, v51, vcc                       // 000000002ED4: 006A6732
	s_nop 3                                                    // 000000002ED8: BF800003
	v_readfirstlane_b32 s98, v53                               // 000000002EDC: 7EC40535
	s_nop 3                                                    // 000000002EE0: BF800003

0000000000002ee4 <label_0039>:
	s_mov_b32 s4, 0                                            // 000000002EE4: BE840080
	v_cvt_f32_u32_e32 v50, s97                                 // 000000002EE8: 7E640C61
	s_sub_i32 s60, 0, s97                                      // 000000002EEC: 81BC6180
	v_rcp_iflag_f32_e32 v50, v50                               // 000000002EF0: 7E644732
	s_nop 0                                                    // 000000002EF4: BF800000
	v_mul_f32_e32 v50, 0x4f7ffffe, v50                         // 000000002EF8: 0A6464FF 4F7FFFFE
	v_cvt_u32_f32_e32 v50, v50                                 // 000000002F00: 7E640F32
	v_mul_lo_u32 v51, s60, v50                                 // 000000002F04: D2850033 0002643C
	v_mul_hi_u32 v51, v50, v51                                 // 000000002F0C: D2860033 00026732
	v_add_u32_e32 v50, v50, v51                                // 000000002F14: 68646732
	v_mul_hi_u32 v50, s99, v50                                 // 000000002F18: D2860032 00026463
	v_mul_lo_u32 v51, v50, s97                                 // 000000002F20: D2850033 0000C332
	v_sub_u32_e32 v53, s99, v51                                // 000000002F28: 6A6A6663
	v_add_u32_e32 v52, 1, v50                                  // 000000002F2C: 68686481
	v_cmp_le_u32_e32 vcc, s97, v53                             // 000000002F30: 7D966A61
	v_subrev_u32_e32 v51, s97, v53                             // 000000002F34: 6C666A61
	s_nop 0                                                    // 000000002F38: BF800000
	v_cndmask_b32_e32 v50, v50, v52, vcc                       // 000000002F3C: 00646932
	v_cndmask_b32_e32 v53, v53, v51, vcc                       // 000000002F40: 006A6735
	v_add_u32_e32 v51, 1, v50                                  // 000000002F44: 68666481
	v_cmp_le_u32_e32 vcc, s97, v53                             // 000000002F48: 7D966A61
	s_nop 1                                                    // 000000002F4C: BF800001
	v_cndmask_b32_e32 v53, v50, v51, vcc                       // 000000002F50: 006A6732
	s_nop 3                                                    // 000000002F54: BF800003
	v_readfirstlane_b32 s3, v53                                // 000000002F58: 7E060535
	s_nop 3                                                    // 000000002F5C: BF800003
	s_mul_i32 s60, s3, s97                                     // 000000002F60: 923C6103
	s_sub_u32 s2, s99, s60                                     // 000000002F64: 80823C63
	s_mul_i32 s60, s98, s100                                   // 000000002F68: 923C6462
	s_add_i32 s3, s3, s60                                      // 000000002F6C: 81033C03

0000000000002f70 <label_005C>:
	s_and_b32 s1, s1, 0xffff                                   // 000000002F70: 8601FF01 0000FFFF
	s_load_dwordx2 s[8:9], s[0:1], 0x0                         // 000000002F78: C0060200 00000000
	s_load_dwordx2 s[20:21], s[0:1], 0x10                      // 000000002F80: C0060500 00000010
	s_load_dwordx2 s[24:25], s[0:1], 0x20                      // 000000002F88: C0060600 00000020
	s_load_dwordx2 s[50:51], s[0:1], 0x30                      // 000000002F90: C0060C80 00000030
	s_load_dwordx2 s[12:13], s[0:1], 0x40                      // 000000002F98: C0060300 00000040
	s_load_dwordx2 s[28:29], s[0:1], 0x50                      // 000000002FA0: C0060700 00000050
	s_load_dwordx2 s[32:33], s[0:1], 0x60                      // 000000002FA8: C0060800 00000060
	s_load_dwordx2 s[16:17], s[0:1], 0x70                      // 000000002FB0: C0060400 00000070
	s_load_dwordx2 s[36:37], s[0:1], 0x80                      // 000000002FB8: C0060900 00000080
	s_load_dwordx2 s[44:45], s[0:1], 0x90                      // 000000002FC0: C0060B00 00000090
	s_load_dwordx2 s[40:41], s[0:1], 0xa0                      // 000000002FC8: C0060A00 000000A0
	s_load_dwordx2 s[46:47], s[0:1], 0xb0                      // 000000002FD0: C0060B80 000000B0
	s_load_dword s64, s[0:1], 0xc0                             // 000000002FD8: C0021000 000000C0
	s_load_dword s65, s[0:1], 0xd0                             // 000000002FE0: C0021040 000000D0
	s_load_dword s67, s[0:1], 0xf0                             // 000000002FE8: C00210C0 000000F0
	s_load_dword s68, s[0:1], 0x100                            // 000000002FF0: C0021100 00000100
	s_load_dword s69, s[0:1], 0x110                            // 000000002FF8: C0021140 00000110
	s_load_dword s70, s[0:1], 0x120                            // 000000003000: C0021180 00000120
	s_load_dword s71, s[0:1], 0x130                            // 000000003008: C00211C0 00000130
	s_load_dword s72, s[0:1], 0x140                            // 000000003010: C0021200 00000140
	s_load_dword s73, s[0:1], 0x150                            // 000000003018: C0021240 00000150
	s_load_dword s74, s[0:1], 0x160                            // 000000003020: C0021280 00000160
	s_load_dword s75, s[0:1], 0x170                            // 000000003028: C00212C0 00000170
	s_load_dword s76, s[0:1], 0x180                            // 000000003030: C0021300 00000180
	s_mov_b32 s2, s2                                           // 000000003038: BE820002
	s_mov_b32 s3, s3                                           // 00000000303C: BE830003
	s_mov_b32 s4, s4                                           // 000000003040: BE840004
	s_waitcnt lgkmcnt(0)                                       // 000000003044: BF8CC07F
	s_and_b32 s51, s51, 0xffff                                 // 000000003048: 8633FF33 0000FFFF
	s_load_dword s66, s[50:51], 0x4                            // 000000003050: C0021099 00000004
	s_load_dword s50, s[50:51], 0x0                            // 000000003058: C0020C99 00000000
	s_waitcnt lgkmcnt(0)                                       // 000000003060: BF8CC07F
	s_and_b32 s45, s45, 0xffff                                 // 000000003064: 862DFF2D 0000FFFF
	s_and_b32 s47, s47, 0xffff                                 // 00000000306C: 862FFF2F 0000FFFF
	s_and_b32 s9, s9, 0xffff                                   // 000000003074: 8609FF09 0000FFFF
	s_mul_i32 s60, s66, s68                                    // 00000000307C: 923C4442
	s_mul_i32 s61, s66, 4                                      // 000000003080: 923D8442
	s_mov_b32 s22, s60                                         // 000000003084: BE96003C
	s_mov_b32 s26, -16                                         // 000000003088: BE9A00D0
	s_mov_b32 s14, -16                                         // 00000000308C: BE8E00D0
	s_mov_b32 s42, -16                                         // 000000003090: BEAA00D0
	s_mov_b32 s30, s61                                         // 000000003094: BE9E003D
	s_mov_b32 s34, 0x600                                       // 000000003098: BEA200FF 00000600
	s_mov_b32 s38, 0x600                                       // 0000000030A0: BEA600FF 00000600
	s_mov_b32 s18, -16                                         // 0000000030A8: BE9200D0
	s_mov_b32 s23, 0x20000                                     // 0000000030AC: BE9700FF 00020000
	s_mov_b32 s27, 0x20000                                     // 0000000030B4: BE9B00FF 00020000
	s_mov_b32 s15, 0x20000                                     // 0000000030BC: BE8F00FF 00020000
	s_mov_b32 s43, 0x20000                                     // 0000000030C4: BEAB00FF 00020000
	s_mov_b32 s31, 0x20000                                     // 0000000030CC: BE9F00FF 00020000
	s_mov_b32 s35, 0x20000                                     // 0000000030D4: BEA300FF 00020000
	s_mov_b32 s39, 0x20000                                     // 0000000030DC: BEA700FF 00020000
	s_mov_b32 s19, 0x20000                                     // 0000000030E4: BE9300FF 00020000
	s_and_b32 s21, s21, 0xffff                                 // 0000000030EC: 8615FF15 0000FFFF
	s_and_b32 s25, s25, 0xffff                                 // 0000000030F4: 8619FF19 0000FFFF
	s_and_b32 s13, s13, 0xffff                                 // 0000000030FC: 860DFF0D 0000FFFF
	s_and_b32 s41, s41, 0xffff                                 // 000000003104: 8629FF29 0000FFFF
	s_and_b32 s29, s29, 0xffff                                 // 00000000310C: 861DFF1D 0000FFFF
	s_and_b32 s33, s33, 0xffff                                 // 000000003114: 8621FF21 0000FFFF
	s_and_b32 s37, s37, 0xffff                                 // 00000000311C: 8625FF25 0000FFFF
	s_and_b32 s17, s17, 0xffff                                 // 000000003124: 8611FF11 0000FFFF
	s_or_b32 s21, s21, 0x40000                                 // 00000000312C: 8715FF15 00040000
	s_or_b32 s25, s25, 0x40000                                 // 000000003134: 8719FF19 00040000
	s_or_b32 s13, s13, 0x40000                                 // 00000000313C: 870DFF0D 00040000
	s_or_b32 s41, s41, 0x40000                                 // 000000003144: 8729FF29 00040000
	s_or_b32 s29, s29, 0x40000                                 // 00000000314C: 871DFF1D 00040000
	s_or_b32 s33, s33, 0x40000                                 // 000000003154: 8721FF21 00040000
	s_or_b32 s37, s37, 0x40000                                 // 00000000315C: 8725FF25 00040000
	s_or_b32 s17, s17, 0x40000                                 // 000000003164: 8711FF11 00040000
	v_accvgpr_write_b32 a191, 0                                // 00000000316C: D3D940BF 18000080
	v_mov_b32_e32 v239, 0                                      // 000000003174: 7FDE0280
	s_waitcnt lgkmcnt(0)                                       // 000000003178: BF8CC07F
	s_mul_i32 s60, s3, 32                                      // 00000000317C: 923CA003
	s_cmp_lt_i32 s60, s50                                      // 000000003180: BF04323C
	s_cbranch_scc0 label_1CD3                                  // 000000003184: BF841BF1
	s_mov_b32 s80, 0                                           // 000000003188: BED00080
	s_mov_b32 s81, s64                                         // 00000000318C: BED10040
	s_mul_i32 s60, s3, 4                                       // 000000003190: 923C8403
	s_add_u32 s46, s60, s46                                    // 000000003194: 802E2E3C
	s_addc_u32 s47, 0, s47                                     // 000000003198: 822F2F80
	s_load_dword s5, s[46:47], 0x0                             // 00000000319C: C0020157 00000000
	s_mul_i32 s60, s3, 32                                      // 0000000031A4: 923CA003
	s_mul_i32 s60, 4, s60                                      // 0000000031A8: 923C3C84
	v_and_b32_e32 v50, 15, v0                                  // 0000000031AC: 2664008F
	v_lshlrev_b32_e32 v50, 2, v50                              // 0000000031B0: 24646482
	v_add_u32_e32 v50, s60, v50                                // 0000000031B4: 6864643C
	v_mov_b32_e32 v51, 0                                       // 0000000031B8: 7E660280
	global_load_dword v6, v50, s[44:45]                        // 0000000031BC: DC508000 062C0032
	v_add_u32_e32 v50, 64, v50                                 // 0000000031C4: 686464C0
	global_load_dword v7, v50, s[44:45]                        // 0000000031C8: DC508000 072C0032
	s_mul_i32 s60, s3, 32                                      // 0000000031D0: 923CA003
	s_add_u32 s60, s7, s60                                     // 0000000031D4: 803C3C07
	s_mul_i32 s60, 4, s60                                      // 0000000031D8: 923C3C84
	s_add_u32 s44, s60, s44                                    // 0000000031DC: 802C2C3C
	s_addc_u32 s45, 0, s45                                     // 0000000031E0: 822D2D80
	s_load_dword s82, s[44:45], 0x0                            // 0000000031E4: C0021496 00000000
	s_load_dword s83, s[44:45], 0x10                           // 0000000031EC: C00214D6 00000010
	s_load_dword s84, s[44:45], 0x20                           // 0000000031F4: C0021516 00000020
	s_load_dword s85, s[44:45], 0x30                           // 0000000031FC: C0021556 00000030
	s_load_dword s86, s[44:45], 0x40                           // 000000003204: C0021596 00000040
	s_load_dword s87, s[44:45], 0x50                           // 00000000320C: C00215D6 00000050
	s_load_dword s88, s[44:45], 0x60                           // 000000003214: C0021616 00000060
	s_load_dword s89, s[44:45], 0x70                           // 00000000321C: C0021656 00000070
	s_waitcnt lgkmcnt(0)                                       // 000000003224: BF8CC07F
	v_lshlrev_b32_e32 v50, 2, v0                               // 000000003228: 24640082
	s_and_b32 s82, s82, 0xffffff                               // 00000000322C: 8652FF52 00FFFFFF
	s_mul_i32 s60, s82, s68                                    // 000000003234: 923C4452
	v_add_u32_e64 v26, v50, s60                                // 000000003238: D134001A 00007932
	s_and_b32 s83, s83, 0xffffff                               // 000000003240: 8653FF53 00FFFFFF
	s_mul_i32 s60, s83, s68                                    // 000000003248: 923C4453
	v_add_u32_e64 v27, v50, s60                                // 00000000324C: D134001B 00007932
	s_and_b32 s84, s84, 0xffffff                               // 000000003254: 8654FF54 00FFFFFF
	s_mul_i32 s60, s84, s68                                    // 00000000325C: 923C4454
	v_add_u32_e64 v28, v50, s60                                // 000000003260: D134001C 00007932
	s_and_b32 s85, s85, 0xffffff                               // 000000003268: 8655FF55 00FFFFFF
	s_mul_i32 s60, s85, s68                                    // 000000003270: 923C4455
	v_add_u32_e64 v29, v50, s60                                // 000000003274: D134001D 00007932
	s_and_b32 s86, s86, 0xffffff                               // 00000000327C: 8656FF56 00FFFFFF
	s_mul_i32 s60, s86, s68                                    // 000000003284: 923C4456
	v_add_u32_e64 v30, v50, s60                                // 000000003288: D134001E 00007932
	s_and_b32 s87, s87, 0xffffff                               // 000000003290: 8657FF57 00FFFFFF
	s_mul_i32 s60, s87, s68                                    // 000000003298: 923C4457
	v_add_u32_e64 v31, v50, s60                                // 00000000329C: D134001F 00007932
	s_and_b32 s88, s88, 0xffffff                               // 0000000032A4: 8658FF58 00FFFFFF
	s_mul_i32 s60, s88, s68                                    // 0000000032AC: 923C4458
	v_add_u32_e64 v32, v50, s60                                // 0000000032B0: D1340020 00007932
	s_and_b32 s89, s89, 0xffffff                               // 0000000032B8: 8659FF59 00FFFFFF
	s_mul_i32 s60, s89, s68                                    // 0000000032C0: 923C4459
	v_add_u32_e64 v33, v50, s60                                // 0000000032C4: D1340021 00007932
	v_lshlrev_b32_e32 v50, 2, v0                               // 0000000032CC: 24640082
	s_mul_i32 s60, s82, s71                                    // 0000000032D0: 923C4752
	v_add_u32_e64 v80, v50, s60                                // 0000000032D4: D1340050 00007932
	v_mov_b32_e32 v81, 0                                       // 0000000032DC: 7EA20280
	s_mul_i32 s60, s83, s71                                    // 0000000032E0: 923C4753
	v_add_u32_e64 v82, v50, s60                                // 0000000032E4: D1340052 00007932
	v_mov_b32_e32 v83, 0                                       // 0000000032EC: 7EA60280
	s_mul_i32 s60, s84, s71                                    // 0000000032F0: 923C4754
	v_add_u32_e64 v84, v50, s60                                // 0000000032F4: D1340054 00007932
	v_mov_b32_e32 v85, 0                                       // 0000000032FC: 7EAA0280
	s_mul_i32 s60, s85, s71                                    // 000000003300: 923C4755
	v_add_u32_e64 v86, v50, s60                                // 000000003304: D1340056 00007932
	v_mov_b32_e32 v87, 0                                       // 00000000330C: 7EAE0280
	s_mul_i32 s60, s86, s71                                    // 000000003310: 923C4756
	v_add_u32_e64 v88, v50, s60                                // 000000003314: D1340058 00007932
	v_mov_b32_e32 v89, 0                                       // 00000000331C: 7EB20280
	s_mul_i32 s60, s87, s71                                    // 000000003320: 923C4757
	v_add_u32_e64 v90, v50, s60                                // 000000003324: D134005A 00007932
	v_mov_b32_e32 v91, 0                                       // 00000000332C: 7EB60280
	s_mul_i32 s60, s88, s71                                    // 000000003330: 923C4758
	v_add_u32_e64 v92, v50, s60                                // 000000003334: D134005C 00007932
	v_mov_b32_e32 v93, 0                                       // 00000000333C: 7EBA0280
	s_mul_i32 s60, s89, s71                                    // 000000003340: 923C4759
	v_add_u32_e64 v94, v50, s60                                // 000000003344: D134005E 00007932
	v_mov_b32_e32 v95, 0                                       // 00000000334C: 7EBE0280
	s_mul_i32 s60, s7, 0x820                                   // 000000003350: 923CFF07 00000820
	s_add_u32 s50, 0, s60                                      // 000000003358: 80323C80
	s_add_u32 s51, 0x2080, s50                                 // 00000000335C: 803332FF 00002080
	v_lshrrev_b32_e32 v50, 4, v0                               // 000000003364: 20640084
	v_lshlrev_b32_e32 v51, 2, v50                              // 000000003368: 24666482
	v_and_b32_e32 v50, 15, v0                                  // 00000000336C: 2664008F
	v_lshrrev_b32_e32 v52, 2, v50                              // 000000003370: 20686482
	v_lshlrev_b32_e32 v52, 6, v52                              // 000000003374: 24686886
	v_add_u32_e32 v51, v52, v51                                // 000000003378: 68666734
	v_and_b32_e32 v50, 3, v0                                   // 00000000337C: 26640083
	v_mul_i32_i24_e32 v52, 0x208, v50                          // 000000003380: 0C6864FF 00000208
	v_add_u32_e32 v51, v52, v51                                // 000000003388: 68666734
	v_lshlrev_b32_e32 v2, 2, v51                               // 00000000338C: 24046682
	s_mul_i32 s60, s2, 0x180                                   // 000000003390: 923CFF02 00000180
	s_mul_i32 s60, s60, s69                                    // 000000003398: 923C453C
	s_mul_i32 s61, s5, s72                                     // 00000000339C: 923D4805
	s_add_u32 s60, s61, s60                                    // 0000000033A0: 803C3C3D
	s_add_u32 s24, s60, s24                                    // 0000000033A4: 8018183C
	s_addc_u32 s25, 0, s25                                     // 0000000033A8: 82191980
	s_mul_i32 s60, s7, 16                                      // 0000000033AC: 923C9007
	s_mul_i32 s60, s60, s69                                    // 0000000033B0: 923C453C
	v_lshlrev_b32_e32 v34, 4, v0                               // 0000000033B4: 24440084
	v_add_u32_e32 v34, s60, v34                                // 0000000033B8: 6844443C
	s_mul_i32 s60, 64, s69                                     // 0000000033BC: 923C45C0
	v_add_u32_e32 v35, s60, v34                                // 0000000033C0: 6846443C
	v_add_u32_e32 v36, s60, v35                                // 0000000033C4: 6848463C
	v_add_u32_e32 v37, s60, v36                                // 0000000033C8: 684A483C
	v_add_u32_e32 v38, s60, v37                                // 0000000033CC: 684C4A3C
	v_add_u32_e32 v39, s60, v38                                // 0000000033D0: 684E4C3C
	s_mov_b32 s92, s24                                         // 0000000033D4: BEDC0018
	s_mov_b32 s93, s25                                         // 0000000033D8: BEDD0019
	s_mov_b32 s94, s26                                         // 0000000033DC: BEDE001A
	s_mov_b32 s95, s27                                         // 0000000033E0: BEDF001B
	s_mul_i32 s60, s69, s65                                    // 0000000033E4: 923C4145
	s_add_u32 s92, s60, s92                                    // 0000000033E8: 805C5C3C
	s_addc_u32 s93, 0, s93                                     // 0000000033EC: 825D5D80
	s_mul_i32 s60, s2, 0x1800                                  // 0000000033F0: 923CFF02 00001800
	s_mul_i32 s61, s5, s73                                     // 0000000033F8: 923D4905
	s_add_u32 s60, s61, s60                                    // 0000000033FC: 803C3C3D
	s_add_u32 s12, s60, s12                                    // 000000003400: 800C0C3C
	s_addc_u32 s13, 0, s13                                     // 000000003404: 820D0D80
	s_mul_i32 s60, s7, 16                                      // 000000003408: 923C9007
	s_mul_i32 s60, s60, s70                                    // 00000000340C: 923C463C
	v_lshlrev_b32_e32 v40, 4, v0                               // 000000003410: 24500084
	v_add_u32_e32 v40, s60, v40                                // 000000003414: 6850503C
	s_mul_i32 s60, 64, s70                                     // 000000003418: 923C46C0
	v_add_u32_e32 v41, s60, v40                                // 00000000341C: 6852503C
	v_add_u32_e32 v42, s60, v41                                // 000000003420: 6854523C
	v_add_u32_e32 v43, s60, v42                                // 000000003424: 6856543C
	s_mul_i32 s60, s70, 0x100                                  // 000000003428: 923CFF46 00000100
	s_mov_b32 s78, 0x400                                       // 000000003430: BECE00FF 00000400
	s_mul_i32 s61, s78, 5                                      // 000000003438: 923D854E
	s_sub_u32 s56, s60, s61                                    // 00000000343C: 80B83D3C
	s_mul_i32 s60, s3, 32                                      // 000000003440: 923CA003
	s_mul_i32 s60, 4, s60                                      // 000000003444: 923C3C84
	s_add_u32 s40, s60, s40                                    // 000000003448: 8028283C
	s_addc_u32 s41, 0, s41                                     // 00000000344C: 82292980
	v_and_b32_e32 v50, 15, v0                                  // 000000003450: 2664008F
	v_lshlrev_b32_e32 v8, 2, v50                               // 000000003454: 24106482
	v_add_u32_e32 v9, 64, v8                                   // 000000003458: 681210C0
	v_lshrrev_b32_e32 v50, 4, v0                               // 00000000345C: 20640084
	v_lshlrev_b32_e32 v51, 2, v50                              // 000000003460: 24666482
	v_and_b32_e32 v50, 15, v0                                  // 000000003464: 2664008F
	v_lshrrev_b32_e32 v52, 2, v50                              // 000000003468: 20686482
	v_lshlrev_b32_e32 v52, 6, v52                              // 00000000346C: 24686886
	v_add_u32_e32 v51, v52, v51                                // 000000003470: 68666734
	v_and_b32_e32 v50, 3, v0                                   // 000000003474: 26640083
	v_add_u32_e32 v51, v50, v51                                // 000000003478: 68666732
	v_lshlrev_b32_e32 v10, 2, v51                              // 00000000347C: 24146682
	v_add_u32_e32 v11, 0x400, v10                              // 000000003480: 681614FF 00000400
	s_mul_i32 s60, s7, 16                                      // 000000003488: 923C9007
	s_mul_i32 s60, s60, 4                                      // 00000000348C: 923C843C
	v_add_u32_e32 v10, s60, v10                                // 000000003490: 6814143C
	v_add_u32_e32 v11, s60, v11                                // 000000003494: 6816163C
	v_mov_b32_e32 v5, v10                                      // 000000003498: 7E0A030A
	s_mul_i32 s60, s2, 0x180                                   // 00000000349C: 923CFF02 00000180
	s_mul_i32 s60, s60, 4                                      // 0000000034A4: 923C843C
	s_mul_i32 s61, s5, s74                                     // 0000000034A8: 923D4A05
	s_add_u32 s61, s61, s60                                    // 0000000034AC: 803D3C3D
	s_mul_i32 s62, s5, s76                                     // 0000000034B0: 923E4C05
	s_add_u32 s62, s62, s60                                    // 0000000034B4: 803E3C3E
	s_add_u32 s32, s61, s32                                    // 0000000034B8: 8020203D
	s_addc_u32 s33, 0, s33                                     // 0000000034BC: 82212180
	s_add_u32 s36, s62, s36                                    // 0000000034C0: 8024243E
	s_addc_u32 s37, 0, s37                                     // 0000000034C4: 82252580
	s_mul_i32 s60, s5, s75                                     // 0000000034C8: 923C4B05
	s_add_u32 s16, s60, s16                                    // 0000000034CC: 8010103C
	s_addc_u32 s17, 0, s17                                     // 0000000034D0: 82111180
	s_mov_b32 s57, 0x100                                       // 0000000034D4: BEB900FF 00000100
	s_mov_b32 s58, 0x1000                                      // 0000000034DC: BEBA00FF 00001000
	s_mov_b32 s79, 0x400                                       // 0000000034E4: BECF00FF 00000400
	s_mov_b32 s59, 0x200                                       // 0000000034EC: BEBB00FF 00000200
	s_mov_b32 s90, s58                                         // 0000000034F4: BEDA003A
	s_mov_b32 s52, 0x7060302                                   // 0000000034F8: BEB400FF 07060302
	s_mov_b32 s53, 0x400                                       // 000000003500: BEB500FF 00000400
	s_mov_b32 s54, 0x40100                                     // 000000003508: BEB600FF 00040100
	s_mov_b32 s55, 0x4020100                                   // 000000003510: BEB700FF 04020100
	s_mov_b32 s6, 0x3fb8aa3b                                   // 000000003518: BE8600FF 3FB8AA3B
	s_mov_b32 s77, 0xbd92220c                                  // 000000003520: BECD00FF BD92220C
	s_mov_b32 m0, s50                                          // 000000003528: BEFC0032
	v_mov_b32_e32 v1, 0xbfcc4231                               // 00000000352C: 7E0202FF BFCC4231
	v_mov_b32_e32 v45, 0xffff0000                              // 000000003534: 7E5A02FF FFFF0000
	v_mov_b32_e32 v46, 0x7fff0000                              // 00000000353C: 7E5C02FF 7FFF0000
	v_mov_b32_e32 v47, 0x7fff                                  // 000000003544: 7E5E02FF 00007FFF
	s_waitcnt vmcnt(0) expcnt(0) lgkmcnt(0)                    // 00000000354C: BF8C0000
	v_and_b32_e32 v6, 0xffffff, v6                             // 000000003550: 260C0CFF 00FFFFFF
	v_and_b32_e32 v7, 0xffffff, v7                             // 000000003558: 260E0EFF 00FFFFFF
	v_lshlrev_b32_e32 v6, 2, v6                                // 000000003560: 240C0C82
	v_lshlrev_b32_e32 v7, 2, v7                                // 000000003564: 240E0E82
	buffer_load_dword v14, v6, s[28:31], 0 offen               // 000000003568: E0501000 80070E06
	buffer_load_dword v15, v7, s[28:31], 0 offen               // 000000003570: E0501000 80070F07
	buffer_load_dword v16, v10, s[32:35], 0 offen              // 000000003578: E0501000 8008100A
	buffer_load_dword v17, v11, s[32:35], 0 offen              // 000000003580: E0501000 8008110B
	s_mul_i32 s60, 4, s65                                      // 000000003588: 923C4184
	s_add_u32 s32, s60, s32                                    // 00000000358C: 8020203C
	s_addc_u32 s33, 0, s33                                     // 000000003590: 82212180
	buffer_load_dword v48, v10, s[32:35], 0 offen              // 000000003594: E0501000 8008300A
	buffer_load_dword v49, v11, s[32:35], 0 offen              // 00000000359C: E0501000 8008310B
	buffer_load_dword v20, v8, s[40:43], 0 offen               // 0000000035A4: E0501000 800A1408
	buffer_load_dword v21, v9, s[40:43], 0 offen               // 0000000035AC: E0501000 800A1509
	buffer_load_dword v26, s[20:23], 0 offen lds               // 0000000035B4: E0511000 8005001A
	s_add_u32 m0, 0x100, s50                                   // 0000000035BC: 807C32FF 00000100
	buffer_load_dword v27, s[20:23], 0 offen lds               // 0000000035C4: E0511000 8005001B
	s_add_u32 m0, 0x200, s50                                   // 0000000035CC: 807C32FF 00000200
	buffer_load_dword v28, s[20:23], 0 offen lds               // 0000000035D4: E0511000 8005001C
	s_add_u32 m0, 0x300, s50                                   // 0000000035DC: 807C32FF 00000300
	buffer_load_dword v29, s[20:23], 0 offen lds               // 0000000035E4: E0511000 8005001D
	s_add_u32 m0, 0x400, s50                                   // 0000000035EC: 807C32FF 00000400
	buffer_load_dword v30, s[20:23], 0 offen lds               // 0000000035F4: E0511000 8005001E
	s_add_u32 m0, 0x500, s50                                   // 0000000035FC: 807C32FF 00000500
	buffer_load_dword v31, s[20:23], 0 offen lds               // 000000003604: E0511000 8005001F
	s_add_u32 m0, 0x600, s50                                   // 00000000360C: 807C32FF 00000600
	buffer_load_dword v32, s[20:23], 0 offen lds               // 000000003614: E0511000 80050020
	s_add_u32 m0, 0x700, s50                                   // 00000000361C: 807C32FF 00000700
	buffer_load_dword v33, s[20:23], 0 offen lds               // 000000003624: E0511000 80050021
	s_add_u32 m0, 0, s51                                       // 00000000362C: 807C3380
	s_add_u32 s20, s57, s20                                    // 000000003630: 80141439
	s_addc_u32 s21, 0, s21                                     // 000000003634: 82151580
	buffer_load_dwordx4 a[0:3], v34, s[24:27], 0 offen         // 000000003638: E05C1000 80860022
	buffer_load_dwordx4 a[4:7], v34, s[24:27], 0 offen offset:1024// 000000003640: E05C1400 80860422
	buffer_load_dwordx4 a[8:11], v34, s[24:27], 0 offen offset:2048// 000000003648: E05C1800 80860822
	buffer_load_dwordx4 a[12:15], v34, s[24:27], 0 offen offset:3072// 000000003650: E05C1C00 80860C22
	buffer_load_dwordx4 a[16:19], v35, s[24:27], 0 offen       // 000000003658: E05C1000 80861023
	buffer_load_dwordx4 a[20:23], v35, s[24:27], 0 offen offset:1024// 000000003660: E05C1400 80861423
	buffer_load_dwordx4 a[24:27], v35, s[24:27], 0 offen offset:2048// 000000003668: E05C1800 80861823
	buffer_load_dwordx4 a[28:31], v35, s[24:27], 0 offen offset:3072// 000000003670: E05C1C00 80861C23
	buffer_load_dwordx4 a[32:35], v36, s[24:27], 0 offen       // 000000003678: E05C1000 80862024
	buffer_load_dwordx4 a[36:39], v36, s[24:27], 0 offen offset:1024// 000000003680: E05C1400 80862424
	buffer_load_dwordx4 a[40:43], v36, s[24:27], 0 offen offset:2048// 000000003688: E05C1800 80862824
	buffer_load_dwordx4 a[44:47], v36, s[24:27], 0 offen offset:3072// 000000003690: E05C1C00 80862C24
	buffer_load_dwordx4 a[48:51], v37, s[24:27], 0 offen       // 000000003698: E05C1000 80863025
	buffer_load_dwordx4 a[52:55], v37, s[24:27], 0 offen offset:1024// 0000000036A0: E05C1400 80863425
	buffer_load_dwordx4 a[56:59], v37, s[24:27], 0 offen offset:2048// 0000000036A8: E05C1800 80863825
	buffer_load_dwordx4 a[60:63], v37, s[24:27], 0 offen offset:3072// 0000000036B0: E05C1C00 80863C25
	buffer_load_dwordx4 a[64:67], v38, s[24:27], 0 offen       // 0000000036B8: E05C1000 80864026
	buffer_load_dwordx4 a[68:71], v38, s[24:27], 0 offen offset:1024// 0000000036C0: E05C1400 80864426
	buffer_load_dwordx4 a[72:75], v38, s[24:27], 0 offen offset:2048// 0000000036C8: E05C1800 80864826
	buffer_load_dwordx4 a[76:79], v38, s[24:27], 0 offen offset:3072// 0000000036D0: E05C1C00 80864C26
	buffer_load_dwordx4 a[80:83], v39, s[24:27], 0 offen       // 0000000036D8: E05C1000 80865027
	buffer_load_dwordx4 a[84:87], v39, s[24:27], 0 offen offset:1024// 0000000036E0: E05C1400 80865427
	buffer_load_dwordx4 a[88:91], v39, s[24:27], 0 offen offset:2048// 0000000036E8: E05C1800 80865827
	buffer_load_dwordx4 a[92:95], v39, s[24:27], 0 offen offset:3072// 0000000036F0: E05C1C00 80865C27
	s_add_u32 s24, s58, s24                                    // 0000000036F8: 8018183A
	s_addc_u32 s25, 0, s25                                     // 0000000036FC: 82191980
	v_mov_b32_e32 v128, 0                                      // 000000003700: 7F000280
	v_mov_b32_e32 v64, 0                                       // 000000003704: 7E800280
	v_mov_b32_e32 v129, 0                                      // 000000003708: 7F020280
	v_mov_b32_e32 v65, 0                                       // 00000000370C: 7E820280
	v_mov_b32_e32 v130, 0                                      // 000000003710: 7F040280
	v_mov_b32_e32 v66, 0                                       // 000000003714: 7E840280
	v_mov_b32_e32 v131, 0                                      // 000000003718: 7F060280
	v_mov_b32_e32 v67, 0                                       // 00000000371C: 7E860280
	v_mov_b32_e32 v132, 0                                      // 000000003720: 7F080280
	v_mov_b32_e32 v68, 0                                       // 000000003724: 7E880280
	v_mov_b32_e32 v133, 0                                      // 000000003728: 7F0A0280
	v_mov_b32_e32 v69, 0                                       // 00000000372C: 7E8A0280
	v_mov_b32_e32 v134, 0                                      // 000000003730: 7F0C0280
	v_mov_b32_e32 v70, 0                                       // 000000003734: 7E8C0280
	v_mov_b32_e32 v135, 0                                      // 000000003738: 7F0E0280
	v_mov_b32_e32 v71, 0                                       // 00000000373C: 7E8E0280
	v_mov_b32_e32 v136, 0                                      // 000000003740: 7F100280
	v_mov_b32_e32 v72, 0                                       // 000000003744: 7E900280
	v_mov_b32_e32 v137, 0                                      // 000000003748: 7F120280
	v_mov_b32_e32 v73, 0                                       // 00000000374C: 7E920280
	v_mov_b32_e32 v138, 0                                      // 000000003750: 7F140280
	v_mov_b32_e32 v74, 0                                       // 000000003754: 7E940280
	v_mov_b32_e32 v139, 0                                      // 000000003758: 7F160280
	v_mov_b32_e32 v75, 0                                       // 00000000375C: 7E960280
	v_mov_b32_e32 v140, 0                                      // 000000003760: 7F180280
	v_mov_b32_e32 v76, 0                                       // 000000003764: 7E980280
	v_mov_b32_e32 v141, 0                                      // 000000003768: 7F1A0280
	v_mov_b32_e32 v77, 0                                       // 00000000376C: 7E9A0280
	v_mov_b32_e32 v142, 0                                      // 000000003770: 7F1C0280
	v_mov_b32_e32 v78, 0                                       // 000000003774: 7E9C0280
	v_mov_b32_e32 v143, 0                                      // 000000003778: 7F1E0280
	v_mov_b32_e32 v79, 0                                       // 00000000377C: 7E9E0280
	v_mov_b32_e32 v144, 0                                      // 000000003780: 7F200280
	v_mov_b32_e32 v80, 0                                       // 000000003784: 7EA00280
	v_mov_b32_e32 v145, 0                                      // 000000003788: 7F220280
	v_mov_b32_e32 v81, 0                                       // 00000000378C: 7EA20280
	v_mov_b32_e32 v146, 0                                      // 000000003790: 7F240280
	v_mov_b32_e32 v82, 0                                       // 000000003794: 7EA40280
	v_mov_b32_e32 v147, 0                                      // 000000003798: 7F260280
	v_mov_b32_e32 v83, 0                                       // 00000000379C: 7EA60280
	v_mov_b32_e32 v148, 0                                      // 0000000037A0: 7F280280
	v_mov_b32_e32 v84, 0                                       // 0000000037A4: 7EA80280
	v_mov_b32_e32 v149, 0                                      // 0000000037A8: 7F2A0280
	v_mov_b32_e32 v85, 0                                       // 0000000037AC: 7EAA0280
	v_mov_b32_e32 v150, 0                                      // 0000000037B0: 7F2C0280
	v_mov_b32_e32 v86, 0                                       // 0000000037B4: 7EAC0280
	v_mov_b32_e32 v151, 0                                      // 0000000037B8: 7F2E0280
	v_mov_b32_e32 v87, 0                                       // 0000000037BC: 7EAE0280
	v_mov_b32_e32 v152, 0                                      // 0000000037C0: 7F300280
	v_mov_b32_e32 v88, 0                                       // 0000000037C4: 7EB00280
	v_mov_b32_e32 v153, 0                                      // 0000000037C8: 7F320280
	v_mov_b32_e32 v89, 0                                       // 0000000037CC: 7EB20280
	v_mov_b32_e32 v154, 0                                      // 0000000037D0: 7F340280
	v_mov_b32_e32 v90, 0                                       // 0000000037D4: 7EB40280
	v_mov_b32_e32 v155, 0                                      // 0000000037D8: 7F360280
	v_mov_b32_e32 v91, 0                                       // 0000000037DC: 7EB60280
	v_mov_b32_e32 v156, 0                                      // 0000000037E0: 7F380280
	v_mov_b32_e32 v92, 0                                       // 0000000037E4: 7EB80280
	v_mov_b32_e32 v157, 0                                      // 0000000037E8: 7F3A0280
	v_mov_b32_e32 v93, 0                                       // 0000000037EC: 7EBA0280
	v_mov_b32_e32 v158, 0                                      // 0000000037F0: 7F3C0280
	v_mov_b32_e32 v94, 0                                       // 0000000037F4: 7EBC0280
	v_mov_b32_e32 v159, 0                                      // 0000000037F8: 7F3E0280
	v_mov_b32_e32 v95, 0                                       // 0000000037FC: 7EBE0280
	v_mov_b32_e32 v160, 0                                      // 000000003800: 7F400280
	v_mov_b32_e32 v96, 0                                       // 000000003804: 7EC00280
	v_mov_b32_e32 v161, 0                                      // 000000003808: 7F420280
	v_mov_b32_e32 v97, 0                                       // 00000000380C: 7EC20280
	v_mov_b32_e32 v162, 0                                      // 000000003810: 7F440280
	v_mov_b32_e32 v98, 0                                       // 000000003814: 7EC40280
	v_mov_b32_e32 v163, 0                                      // 000000003818: 7F460280
	v_mov_b32_e32 v99, 0                                       // 00000000381C: 7EC60280
	v_mov_b32_e32 v164, 0                                      // 000000003820: 7F480280
	v_mov_b32_e32 v100, 0                                      // 000000003824: 7EC80280
	v_mov_b32_e32 v165, 0                                      // 000000003828: 7F4A0280
	v_mov_b32_e32 v101, 0                                      // 00000000382C: 7ECA0280
	v_mov_b32_e32 v166, 0                                      // 000000003830: 7F4C0280
	v_mov_b32_e32 v102, 0                                      // 000000003834: 7ECC0280
	v_mov_b32_e32 v167, 0                                      // 000000003838: 7F4E0280
	v_mov_b32_e32 v103, 0                                      // 00000000383C: 7ECE0280
	v_mov_b32_e32 v168, 0                                      // 000000003840: 7F500280
	v_mov_b32_e32 v104, 0                                      // 000000003844: 7ED00280
	v_mov_b32_e32 v169, 0                                      // 000000003848: 7F520280
	v_mov_b32_e32 v105, 0                                      // 00000000384C: 7ED20280
	v_mov_b32_e32 v170, 0                                      // 000000003850: 7F540280
	v_mov_b32_e32 v106, 0                                      // 000000003854: 7ED40280
	v_mov_b32_e32 v171, 0                                      // 000000003858: 7F560280
	v_mov_b32_e32 v107, 0                                      // 00000000385C: 7ED60280
	v_mov_b32_e32 v172, 0                                      // 000000003860: 7F580280
	v_mov_b32_e32 v108, 0                                      // 000000003864: 7ED80280
	v_mov_b32_e32 v173, 0                                      // 000000003868: 7F5A0280
	v_mov_b32_e32 v109, 0                                      // 00000000386C: 7EDA0280
	v_mov_b32_e32 v174, 0                                      // 000000003870: 7F5C0280
	v_mov_b32_e32 v110, 0                                      // 000000003874: 7EDC0280
	v_mov_b32_e32 v175, 0                                      // 000000003878: 7F5E0280
	v_mov_b32_e32 v111, 0                                      // 00000000387C: 7EDE0280
	v_lshrrev_b32_e32 v50, 4, v0                               // 000000003880: 20640084
	v_mul_i32_i24_e32 v3, 34, v50                              // 000000003884: 0C0664A2
	v_and_b32_e32 v50, 15, v0                                  // 000000003888: 2664008F
	v_mul_i32_i24_e32 v51, 2, v50                              // 00000000388C: 0C666482
	v_add_u32_e32 v3, v51, v3                                  // 000000003890: 68060733
	s_mul_i32 s60, s7, 0x88                                    // 000000003894: 923CFF07 00000088
	v_add_u32_e32 v3, s60, v3                                  // 00000000389C: 6806063C
	v_lshlrev_b32_e32 v3, 2, v3                                // 0000000038A0: 24060682
	v_lshrrev_b32_e32 v50, 1, v0                               // 0000000038A4: 20640081
	v_mul_i32_i24_e32 v4, 34, v50                              // 0000000038A8: 0C0864A2
	v_and_b32_e32 v51, 1, v0                                   // 0000000038AC: 26660081
	v_add_u32_e32 v4, v51, v4                                  // 0000000038B0: 68080933
	s_mul_i32 s60, s7, 2                                       // 0000000038B4: 923C8207
	v_add_u32_e32 v4, s60, v4                                  // 0000000038B8: 6808083C
	v_lshlrev_b32_e32 v4, 2, v4                                // 0000000038BC: 24080882
	s_waitcnt vmcnt(24)                                        // 0000000038C0: BF8C4F78
	s_barrier                                                  // 0000000038C4: BF8A0000
	ds_read_b128 v[176:179], v2                                // 0000000038C8: D9FE0000 B0000002
	ds_read_b128 v[180:183], v2 offset:64                      // 0000000038D0: D9FE0040 B4000002
	ds_read_b128 v[184:187], v2 offset:128                     // 0000000038D8: D9FE0080 B8000002
	ds_read_b128 v[188:191], v2 offset:192                     // 0000000038E0: D9FE00C0 BC000002
	ds_read_b128 v[192:195], v2 offset:1024                    // 0000000038E8: D9FE0400 C0000002
	ds_read_b128 v[196:199], v2 offset:1088                    // 0000000038F0: D9FE0440 C4000002
	ds_read_b128 v[200:203], v2 offset:1152                    // 0000000038F8: D9FE0480 C8000002
	ds_read_b128 v[204:207], v2 offset:1216                    // 000000003900: D9FE04C0 CC000002
	s_cmp_lt_i32 s7, 2                                         // 000000003908: BF048207
	s_cbranch_scc0 label_0FCB                                  // 00000000390C: BF840D07

0000000000003910 <label_02C4>:
	s_waitcnt vmcnt(16) lgkmcnt(0)                             // 000000003910: BF8C4070
	s_barrier                                                  // 000000003914: BF8A0000
	v_mfma_f32_16x16x32_fp8_fp8 v[128:131], a[0:1], v[176:177], v[128:131]// 000000003918: D3F30080 0E036100
	v_mfma_f32_16x16x32_fp8_fp8 v[128:131], a[2:3], v[178:179], v[128:131]// 000000003920: D3F30080 0E036502
	buffer_load_dwordx4 a[96:99], v34, s[92:95], 0 offen       // 000000003928: E05C1000 80976022
	v_mfma_f32_16x16x32_fp8_fp8 v[128:131], a[4:5], v[180:181], v[128:131]// 000000003930: D3F30080 0E036904
	v_mfma_f32_16x16x32_fp8_fp8 v[128:131], a[6:7], v[182:183], v[128:131]// 000000003938: D3F30080 0E036D06
	buffer_load_dword v26, s[20:23], 0 offen lds               // 000000003940: E0511000 8005001A
	s_add_u32 m0, 0x100, s51                                   // 000000003948: 807C33FF 00000100
	v_mfma_f32_16x16x32_fp8_fp8 v[128:131], a[8:9], v[184:185], v[128:131]// 000000003950: D3F30080 0E037108
	v_mfma_f32_16x16x32_fp8_fp8 v[128:131], a[10:11], v[186:187], v[128:131]// 000000003958: D3F30080 0E03750A
	buffer_load_dwordx4 a[100:103], v34, s[92:95], 0 offen offset:1024// 000000003960: E05C1400 80976422
	v_mfma_f32_16x16x32_fp8_fp8 v[128:131], a[12:13], v[188:189], v[128:131]// 000000003968: D3F30080 0E03790C
	v_mfma_f32_16x16x32_fp8_fp8 v[128:131], a[14:15], v[190:191], v[128:131]// 000000003970: D3F30080 0E037D0E
	buffer_load_dword v27, s[20:23], 0 offen lds               // 000000003978: E0511000 8005001B
	s_add_u32 m0, 0x200, s51                                   // 000000003980: 807C33FF 00000200
	v_mfma_f32_16x16x32_fp8_fp8 v[132:135], a[0:1], v[192:193], v[132:135]// 000000003988: D3F30084 0E138100
	v_mfma_f32_16x16x32_fp8_fp8 v[132:135], a[2:3], v[194:195], v[132:135]// 000000003990: D3F30084 0E138502
	buffer_load_dwordx4 a[104:107], v34, s[92:95], 0 offen offset:2048// 000000003998: E05C1800 80976822
	v_mfma_f32_16x16x32_fp8_fp8 v[132:135], a[4:5], v[196:197], v[132:135]// 0000000039A0: D3F30084 0E138904
	v_mfma_f32_16x16x32_fp8_fp8 v[132:135], a[6:7], v[198:199], v[132:135]// 0000000039A8: D3F30084 0E138D06
	buffer_load_dword v28, s[20:23], 0 offen lds               // 0000000039B0: E0511000 8005001C
	s_add_u32 m0, 0x300, s51                                   // 0000000039B8: 807C33FF 00000300
	v_mfma_f32_16x16x32_fp8_fp8 v[132:135], a[8:9], v[200:201], v[132:135]// 0000000039C0: D3F30084 0E139108
	v_mfma_f32_16x16x32_fp8_fp8 v[132:135], a[10:11], v[202:203], v[132:135]// 0000000039C8: D3F30084 0E13950A
	buffer_load_dwordx4 a[108:111], v34, s[92:95], 0 offen offset:3072// 0000000039D0: E05C1C00 80976C22
	v_mfma_f32_16x16x32_fp8_fp8 v[132:135], a[12:13], v[204:205], v[132:135]// 0000000039D8: D3F30084 0E13990C
	v_mfma_f32_16x16x32_fp8_fp8 v[132:135], a[14:15], v[206:207], v[132:135]// 0000000039E0: D3F30084 0E139D0E
	buffer_load_dword v29, s[20:23], 0 offen lds               // 0000000039E8: E0511000 8005001D
	s_add_u32 m0, 0x400, s51                                   // 0000000039F0: 807C33FF 00000400
	v_mfma_f32_16x16x32_fp8_fp8 v[136:139], a[16:17], v[176:177], v[136:139]// 0000000039F8: D3F30088 0E236110
	v_mfma_f32_16x16x32_fp8_fp8 v[136:139], a[18:19], v[178:179], v[136:139]// 000000003A00: D3F30088 0E236512
	buffer_load_dwordx4 a[112:115], v35, s[92:95], 0 offen     // 000000003A08: E05C1000 80977023
	v_mfma_f32_16x16x32_fp8_fp8 v[136:139], a[20:21], v[180:181], v[136:139]// 000000003A10: D3F30088 0E236914
	v_mfma_f32_16x16x32_fp8_fp8 v[136:139], a[22:23], v[182:183], v[136:139]// 000000003A18: D3F30088 0E236D16
	buffer_load_dword v30, s[20:23], 0 offen lds               // 000000003A20: E0511000 8005001E
	s_add_u32 m0, 0x500, s51                                   // 000000003A28: 807C33FF 00000500
	v_mfma_f32_16x16x32_fp8_fp8 v[136:139], a[24:25], v[184:185], v[136:139]// 000000003A30: D3F30088 0E237118
	v_mfma_f32_16x16x32_fp8_fp8 v[136:139], a[26:27], v[186:187], v[136:139]// 000000003A38: D3F30088 0E23751A
	buffer_load_dwordx4 a[116:119], v35, s[92:95], 0 offen offset:1024// 000000003A40: E05C1400 80977423
	v_mfma_f32_16x16x32_fp8_fp8 v[136:139], a[28:29], v[188:189], v[136:139]// 000000003A48: D3F30088 0E23791C
	v_mfma_f32_16x16x32_fp8_fp8 v[136:139], a[30:31], v[190:191], v[136:139]// 000000003A50: D3F30088 0E237D1E
	buffer_load_dword v31, s[20:23], 0 offen lds               // 000000003A58: E0511000 8005001F
	s_add_u32 m0, 0x600, s51                                   // 000000003A60: 807C33FF 00000600
	v_mfma_f32_16x16x32_fp8_fp8 v[140:143], a[16:17], v[192:193], v[140:143]// 000000003A68: D3F3008C 0E338110
	v_mfma_f32_16x16x32_fp8_fp8 v[140:143], a[18:19], v[194:195], v[140:143]// 000000003A70: D3F3008C 0E338512
	buffer_load_dwordx4 a[120:123], v35, s[92:95], 0 offen offset:2048// 000000003A78: E05C1800 80977823
	v_mfma_f32_16x16x32_fp8_fp8 v[140:143], a[20:21], v[196:197], v[140:143]// 000000003A80: D3F3008C 0E338914
	v_mfma_f32_16x16x32_fp8_fp8 v[140:143], a[22:23], v[198:199], v[140:143]// 000000003A88: D3F3008C 0E338D16
	buffer_load_dword v32, s[20:23], 0 offen lds               // 000000003A90: E0511000 80050020
	s_add_u32 m0, 0x700, s51                                   // 000000003A98: 807C33FF 00000700
	v_mfma_f32_16x16x32_fp8_fp8 v[140:143], a[24:25], v[200:201], v[140:143]// 000000003AA0: D3F3008C 0E339118
	v_mfma_f32_16x16x32_fp8_fp8 v[140:143], a[26:27], v[202:203], v[140:143]// 000000003AA8: D3F3008C 0E33951A
	buffer_load_dwordx4 a[124:127], v35, s[92:95], 0 offen offset:3072// 000000003AB0: E05C1C00 80977C23
	v_mfma_f32_16x16x32_fp8_fp8 v[140:143], a[28:29], v[204:205], v[140:143]// 000000003AB8: D3F3008C 0E33991C
	v_mfma_f32_16x16x32_fp8_fp8 v[140:143], a[30:31], v[206:207], v[140:143]// 000000003AC0: D3F3008C 0E339D1E
	buffer_load_dword v33, s[20:23], 0 offen lds               // 000000003AC8: E0511000 80050021
	s_add_u32 m0, 0, s50                                       // 000000003AD0: 807C3280
	s_waitcnt vmcnt(28)                                        // 000000003AD4: BF8C4F7C
	v_mfma_f32_16x16x32_fp8_fp8 v[144:147], a[32:33], v[176:177], v[144:147]// 000000003AD8: D3F30090 0E436120
	v_mfma_f32_16x16x32_fp8_fp8 v[144:147], a[34:35], v[178:179], v[144:147]// 000000003AE0: D3F30090 0E436522
	buffer_load_dwordx4 a[128:131], v36, s[92:95], 0 offen     // 000000003AE8: E05C1000 80978024
	v_mfma_f32_16x16x32_fp8_fp8 v[144:147], a[36:37], v[180:181], v[144:147]// 000000003AF0: D3F30090 0E436924
	v_mfma_f32_16x16x32_fp8_fp8 v[144:147], a[38:39], v[182:183], v[144:147]// 000000003AF8: D3F30090 0E436D26
	v_mfma_f32_16x16x32_fp8_fp8 v[144:147], a[40:41], v[184:185], v[144:147]// 000000003B00: D3F30090 0E437128
	v_mfma_f32_16x16x32_fp8_fp8 v[144:147], a[42:43], v[186:187], v[144:147]// 000000003B08: D3F30090 0E43752A
	buffer_load_dwordx4 a[132:135], v36, s[92:95], 0 offen offset:1024// 000000003B10: E05C1400 80978424
	v_mfma_f32_16x16x32_fp8_fp8 v[144:147], a[44:45], v[188:189], v[144:147]// 000000003B18: D3F30090 0E43792C
	v_mfma_f32_16x16x32_fp8_fp8 v[144:147], a[46:47], v[190:191], v[144:147]// 000000003B20: D3F30090 0E437D2E
	v_mfma_f32_16x16x32_fp8_fp8 v[148:151], a[32:33], v[192:193], v[148:151]// 000000003B28: D3F30094 0E538120
	v_mfma_f32_16x16x32_fp8_fp8 v[148:151], a[34:35], v[194:195], v[148:151]// 000000003B30: D3F30094 0E538522
	buffer_load_dwordx4 a[136:139], v36, s[92:95], 0 offen offset:2048// 000000003B38: E05C1800 80978824
	v_mfma_f32_16x16x32_fp8_fp8 v[148:151], a[36:37], v[196:197], v[148:151]// 000000003B40: D3F30094 0E538924
	v_mfma_f32_16x16x32_fp8_fp8 v[148:151], a[38:39], v[198:199], v[148:151]// 000000003B48: D3F30094 0E538D26
	v_mfma_f32_16x16x32_fp8_fp8 v[148:151], a[40:41], v[200:201], v[148:151]// 000000003B50: D3F30094 0E539128
	v_mfma_f32_16x16x32_fp8_fp8 v[148:151], a[42:43], v[202:203], v[148:151]// 000000003B58: D3F30094 0E53952A
	buffer_load_dwordx4 a[140:143], v36, s[92:95], 0 offen offset:3072// 000000003B60: E05C1C00 80978C24
	v_mfma_f32_16x16x32_fp8_fp8 v[148:151], a[44:45], v[204:205], v[148:151]// 000000003B68: D3F30094 0E53992C
	v_mfma_f32_16x16x32_fp8_fp8 v[148:151], a[46:47], v[206:207], v[148:151]// 000000003B70: D3F30094 0E539D2E
	s_waitcnt vmcnt(28)                                        // 000000003B78: BF8C4F7C
	v_mfma_f32_16x16x32_fp8_fp8 v[152:155], a[48:49], v[176:177], v[152:155]// 000000003B7C: D3F30098 0E636130
	v_mfma_f32_16x16x32_fp8_fp8 v[152:155], a[50:51], v[178:179], v[152:155]// 000000003B84: D3F30098 0E636532
	buffer_load_dwordx4 a[144:147], v37, s[92:95], 0 offen     // 000000003B8C: E05C1000 80979025
	v_mfma_f32_16x16x32_fp8_fp8 v[152:155], a[52:53], v[180:181], v[152:155]// 000000003B94: D3F30098 0E636934
	v_mfma_f32_16x16x32_fp8_fp8 v[152:155], a[54:55], v[182:183], v[152:155]// 000000003B9C: D3F30098 0E636D36
	v_mfma_f32_16x16x32_fp8_fp8 v[152:155], a[56:57], v[184:185], v[152:155]// 000000003BA4: D3F30098 0E637138
	v_mfma_f32_16x16x32_fp8_fp8 v[152:155], a[58:59], v[186:187], v[152:155]// 000000003BAC: D3F30098 0E63753A
	buffer_load_dwordx4 a[148:151], v37, s[92:95], 0 offen offset:1024// 000000003BB4: E05C1400 80979425
	v_mfma_f32_16x16x32_fp8_fp8 v[152:155], a[60:61], v[188:189], v[152:155]// 000000003BBC: D3F30098 0E63793C
	v_mfma_f32_16x16x32_fp8_fp8 v[152:155], a[62:63], v[190:191], v[152:155]// 000000003BC4: D3F30098 0E637D3E
	v_mfma_f32_16x16x32_fp8_fp8 v[156:159], a[48:49], v[192:193], v[156:159]// 000000003BCC: D3F3009C 0E738130
	v_mfma_f32_16x16x32_fp8_fp8 v[156:159], a[50:51], v[194:195], v[156:159]// 000000003BD4: D3F3009C 0E738532
	buffer_load_dwordx4 a[152:155], v37, s[92:95], 0 offen offset:2048// 000000003BDC: E05C1800 80979825
	v_mfma_f32_16x16x32_fp8_fp8 v[156:159], a[52:53], v[196:197], v[156:159]// 000000003BE4: D3F3009C 0E738934
	v_mfma_f32_16x16x32_fp8_fp8 v[156:159], a[54:55], v[198:199], v[156:159]// 000000003BEC: D3F3009C 0E738D36
	v_mfma_f32_16x16x32_fp8_fp8 v[156:159], a[56:57], v[200:201], v[156:159]// 000000003BF4: D3F3009C 0E739138
	v_mfma_f32_16x16x32_fp8_fp8 v[156:159], a[58:59], v[202:203], v[156:159]// 000000003BFC: D3F3009C 0E73953A
	buffer_load_dwordx4 a[156:159], v37, s[92:95], 0 offen offset:3072// 000000003C04: E05C1C00 80979C25
	v_mfma_f32_16x16x32_fp8_fp8 v[156:159], a[60:61], v[204:205], v[156:159]// 000000003C0C: D3F3009C 0E73993C
	v_mfma_f32_16x16x32_fp8_fp8 v[156:159], a[62:63], v[206:207], v[156:159]// 000000003C14: D3F3009C 0E739D3E
	s_waitcnt vmcnt(28)                                        // 000000003C1C: BF8C4F7C
	v_mfma_f32_16x16x32_fp8_fp8 v[160:163], a[64:65], v[176:177], v[160:163]// 000000003C20: D3F300A0 0E836140
	v_mfma_f32_16x16x32_fp8_fp8 v[160:163], a[66:67], v[178:179], v[160:163]// 000000003C28: D3F300A0 0E836542
	buffer_load_dwordx4 a[160:163], v38, s[92:95], 0 offen     // 000000003C30: E05C1000 8097A026
	v_mfma_f32_16x16x32_fp8_fp8 v[160:163], a[68:69], v[180:181], v[160:163]// 000000003C38: D3F300A0 0E836944
	v_mfma_f32_16x16x32_fp8_fp8 v[160:163], a[70:71], v[182:183], v[160:163]// 000000003C40: D3F300A0 0E836D46
	v_mfma_f32_16x16x32_fp8_fp8 v[160:163], a[72:73], v[184:185], v[160:163]// 000000003C48: D3F300A0 0E837148
	v_mfma_f32_16x16x32_fp8_fp8 v[160:163], a[74:75], v[186:187], v[160:163]// 000000003C50: D3F300A0 0E83754A
	buffer_load_dwordx4 a[164:167], v38, s[92:95], 0 offen offset:1024// 000000003C58: E05C1400 8097A426
	v_mfma_f32_16x16x32_fp8_fp8 v[160:163], a[76:77], v[188:189], v[160:163]// 000000003C60: D3F300A0 0E83794C
	v_mfma_f32_16x16x32_fp8_fp8 v[160:163], a[78:79], v[190:191], v[160:163]// 000000003C68: D3F300A0 0E837D4E
	v_mfma_f32_16x16x32_fp8_fp8 v[164:167], a[64:65], v[192:193], v[164:167]// 000000003C70: D3F300A4 0E938140
	v_mfma_f32_16x16x32_fp8_fp8 v[164:167], a[66:67], v[194:195], v[164:167]// 000000003C78: D3F300A4 0E938542
	buffer_load_dwordx4 a[168:171], v38, s[92:95], 0 offen offset:2048// 000000003C80: E05C1800 8097A826
	v_mfma_f32_16x16x32_fp8_fp8 v[164:167], a[68:69], v[196:197], v[164:167]// 000000003C88: D3F300A4 0E938944
	v_mfma_f32_16x16x32_fp8_fp8 v[164:167], a[70:71], v[198:199], v[164:167]// 000000003C90: D3F300A4 0E938D46
	v_mfma_f32_16x16x32_fp8_fp8 v[164:167], a[72:73], v[200:201], v[164:167]// 000000003C98: D3F300A4 0E939148
	v_mfma_f32_16x16x32_fp8_fp8 v[164:167], a[74:75], v[202:203], v[164:167]// 000000003CA0: D3F300A4 0E93954A
	buffer_load_dwordx4 a[172:175], v38, s[92:95], 0 offen offset:3072// 000000003CA8: E05C1C00 8097AC26
	v_mfma_f32_16x16x32_fp8_fp8 v[164:167], a[76:77], v[204:205], v[164:167]// 000000003CB0: D3F300A4 0E93994C
	v_mfma_f32_16x16x32_fp8_fp8 v[164:167], a[78:79], v[206:207], v[164:167]// 000000003CB8: D3F300A4 0E939D4E
	s_waitcnt vmcnt(28)                                        // 000000003CC0: BF8C4F7C
	v_mfma_f32_16x16x32_fp8_fp8 v[168:171], a[80:81], v[176:177], v[168:171]// 000000003CC4: D3F300A8 0EA36150
	v_mfma_f32_16x16x32_fp8_fp8 v[168:171], a[82:83], v[178:179], v[168:171]// 000000003CCC: D3F300A8 0EA36552
	buffer_load_dwordx4 a[176:179], v39, s[92:95], 0 offen     // 000000003CD4: E05C1000 8097B027
	v_mfma_f32_16x16x32_fp8_fp8 v[168:171], a[84:85], v[180:181], v[168:171]// 000000003CDC: D3F300A8 0EA36954
	v_mfma_f32_16x16x32_fp8_fp8 v[168:171], a[86:87], v[182:183], v[168:171]// 000000003CE4: D3F300A8 0EA36D56
	v_mfma_f32_16x16x32_fp8_fp8 v[168:171], a[88:89], v[184:185], v[168:171]// 000000003CEC: D3F300A8 0EA37158
	v_mfma_f32_16x16x32_fp8_fp8 v[168:171], a[90:91], v[186:187], v[168:171]// 000000003CF4: D3F300A8 0EA3755A
	buffer_load_dwordx4 a[180:183], v39, s[92:95], 0 offen offset:1024// 000000003CFC: E05C1400 8097B427
	v_mfma_f32_16x16x32_fp8_fp8 v[168:171], a[92:93], v[188:189], v[168:171]// 000000003D04: D3F300A8 0EA3795C
	v_mfma_f32_16x16x32_fp8_fp8 v[168:171], a[94:95], v[190:191], v[168:171]// 000000003D0C: D3F300A8 0EA37D5E
	v_mfma_f32_16x16x32_fp8_fp8 v[172:175], a[80:81], v[192:193], v[172:175]// 000000003D14: D3F300AC 0EB38150
	v_mfma_f32_16x16x32_fp8_fp8 v[172:175], a[82:83], v[194:195], v[172:175]// 000000003D1C: D3F300AC 0EB38552
	buffer_load_dwordx4 a[184:187], v39, s[92:95], 0 offen offset:2048// 000000003D24: E05C1800 8097B827
	v_mfma_f32_16x16x32_fp8_fp8 v[172:175], a[84:85], v[196:197], v[172:175]// 000000003D2C: D3F300AC 0EB38954
	v_mfma_f32_16x16x32_fp8_fp8 v[172:175], a[86:87], v[198:199], v[172:175]// 000000003D34: D3F300AC 0EB38D56
	v_mfma_f32_16x16x32_fp8_fp8 v[172:175], a[88:89], v[200:201], v[172:175]// 000000003D3C: D3F300AC 0EB39158
	v_mfma_f32_16x16x32_fp8_fp8 v[172:175], a[90:91], v[202:203], v[172:175]// 000000003D44: D3F300AC 0EB3955A
	buffer_load_dwordx4 a[188:191], v39, s[92:95], 0 offen offset:3072// 000000003D4C: E05C1C00 8097BC27
	v_mfma_f32_16x16x32_fp8_fp8 v[172:175], a[92:93], v[204:205], v[172:175]// 000000003D54: D3F300AC 0EB3995C
	v_mfma_f32_16x16x32_fp8_fp8 v[172:175], a[94:95], v[206:207], v[172:175]// 000000003D5C: D3F300AC 0EB39D5E
	s_waitcnt vmcnt(16)                                        // 000000003D64: BF8C4F70
	s_barrier                                                  // 000000003D68: BF8A0000
	v_mfma_f32_16x16x32_fp8_fp8 v[64:67], a[96:97], v[176:177], v[64:67]// 000000003D6C: D3F30040 0D036160
	v_mfma_f32_16x16x32_fp8_fp8 v[64:67], a[98:99], v[178:179], v[64:67]// 000000003D74: D3F30040 0D036562
	buffer_load_dwordx4 a[0:3], v34, s[24:27], 0 offen         // 000000003D7C: E05C1000 80860022
	v_mfma_f32_16x16x32_fp8_fp8 v[64:67], a[100:101], v[180:181], v[64:67]// 000000003D84: D3F30040 0D036964
	v_mfma_f32_16x16x32_fp8_fp8 v[64:67], a[102:103], v[182:183], v[64:67]// 000000003D8C: D3F30040 0D036D66
	v_mfma_f32_16x16x32_fp8_fp8 v[64:67], a[104:105], v[184:185], v[64:67]// 000000003D94: D3F30040 0D037168
	v_mfma_f32_16x16x32_fp8_fp8 v[64:67], a[106:107], v[186:187], v[64:67]// 000000003D9C: D3F30040 0D03756A
	buffer_load_dwordx4 a[4:7], v34, s[24:27], 0 offen offset:1024// 000000003DA4: E05C1400 80860422
	v_mfma_f32_16x16x32_fp8_fp8 v[64:67], a[108:109], v[188:189], v[64:67]// 000000003DAC: D3F30040 0D03796C
	v_mfma_f32_16x16x32_fp8_fp8 v[64:67], a[110:111], v[190:191], v[64:67]// 000000003DB4: D3F30040 0D037D6E
	v_mfma_f32_16x16x32_fp8_fp8 v[68:71], a[96:97], v[192:193], v[68:71]// 000000003DBC: D3F30044 0D138160
	v_mfma_f32_16x16x32_fp8_fp8 v[68:71], a[98:99], v[194:195], v[68:71]// 000000003DC4: D3F30044 0D138562
	buffer_load_dwordx4 a[8:11], v34, s[24:27], 0 offen offset:2048// 000000003DCC: E05C1800 80860822
	v_mfma_f32_16x16x32_fp8_fp8 v[68:71], a[100:101], v[196:197], v[68:71]// 000000003DD4: D3F30044 0D138964
	v_mfma_f32_16x16x32_fp8_fp8 v[68:71], a[102:103], v[198:199], v[68:71]// 000000003DDC: D3F30044 0D138D66
	v_mfma_f32_16x16x32_fp8_fp8 v[68:71], a[104:105], v[200:201], v[68:71]// 000000003DE4: D3F30044 0D139168
	v_mfma_f32_16x16x32_fp8_fp8 v[68:71], a[106:107], v[202:203], v[68:71]// 000000003DEC: D3F30044 0D13956A
	buffer_load_dwordx4 a[12:15], v34, s[24:27], 0 offen offset:3072// 000000003DF4: E05C1C00 80860C22
	v_mfma_f32_16x16x32_fp8_fp8 v[68:71], a[108:109], v[204:205], v[68:71]// 000000003DFC: D3F30044 0D13996C
	v_mfma_f32_16x16x32_fp8_fp8 v[68:71], a[110:111], v[206:207], v[68:71]// 000000003E04: D3F30044 0D139D6E
	v_mfma_f32_16x16x32_fp8_fp8 v[72:75], a[112:113], v[176:177], v[72:75]// 000000003E0C: D3F30048 0D236170
	v_mfma_f32_16x16x32_fp8_fp8 v[72:75], a[114:115], v[178:179], v[72:75]// 000000003E14: D3F30048 0D236572
	buffer_load_dwordx4 a[16:19], v35, s[24:27], 0 offen       // 000000003E1C: E05C1000 80861023
	v_mfma_f32_16x16x32_fp8_fp8 v[72:75], a[116:117], v[180:181], v[72:75]// 000000003E24: D3F30048 0D236974
	v_mfma_f32_16x16x32_fp8_fp8 v[72:75], a[118:119], v[182:183], v[72:75]// 000000003E2C: D3F30048 0D236D76
	v_mfma_f32_16x16x32_fp8_fp8 v[72:75], a[120:121], v[184:185], v[72:75]// 000000003E34: D3F30048 0D237178
	v_mfma_f32_16x16x32_fp8_fp8 v[72:75], a[122:123], v[186:187], v[72:75]// 000000003E3C: D3F30048 0D23757A
	buffer_load_dwordx4 a[20:23], v35, s[24:27], 0 offen offset:1024// 000000003E44: E05C1400 80861423
	v_mfma_f32_16x16x32_fp8_fp8 v[72:75], a[124:125], v[188:189], v[72:75]// 000000003E4C: D3F30048 0D23797C
	v_mfma_f32_16x16x32_fp8_fp8 v[72:75], a[126:127], v[190:191], v[72:75]// 000000003E54: D3F30048 0D237D7E
	v_mfma_f32_16x16x32_fp8_fp8 v[76:79], a[112:113], v[192:193], v[76:79]// 000000003E5C: D3F3004C 0D338170
	v_mfma_f32_16x16x32_fp8_fp8 v[76:79], a[114:115], v[194:195], v[76:79]// 000000003E64: D3F3004C 0D338572
	buffer_load_dwordx4 a[24:27], v35, s[24:27], 0 offen offset:2048// 000000003E6C: E05C1800 80861823
	v_mfma_f32_16x16x32_fp8_fp8 v[76:79], a[116:117], v[196:197], v[76:79]// 000000003E74: D3F3004C 0D338974
	v_mfma_f32_16x16x32_fp8_fp8 v[76:79], a[118:119], v[198:199], v[76:79]// 000000003E7C: D3F3004C 0D338D76
	v_mfma_f32_16x16x32_fp8_fp8 v[76:79], a[120:121], v[200:201], v[76:79]// 000000003E84: D3F3004C 0D339178
	v_mfma_f32_16x16x32_fp8_fp8 v[76:79], a[122:123], v[202:203], v[76:79]// 000000003E8C: D3F3004C 0D33957A
	buffer_load_dwordx4 a[28:31], v35, s[24:27], 0 offen offset:3072// 000000003E94: E05C1C00 80861C23
	v_mfma_f32_16x16x32_fp8_fp8 v[76:79], a[124:125], v[204:205], v[76:79]// 000000003E9C: D3F3004C 0D33997C
	v_mfma_f32_16x16x32_fp8_fp8 v[76:79], a[126:127], v[206:207], v[76:79]// 000000003EA4: D3F3004C 0D339D7E
	s_waitcnt vmcnt(20)                                        // 000000003EAC: BF8C4F74
	v_mfma_f32_16x16x32_fp8_fp8 v[80:83], a[128:129], v[176:177], v[80:83]// 000000003EB0: D3F30050 0D436180
	v_mfma_f32_16x16x32_fp8_fp8 v[80:83], a[130:131], v[178:179], v[80:83]// 000000003EB8: D3F30050 0D436582
	buffer_load_dwordx4 a[32:35], v36, s[24:27], 0 offen       // 000000003EC0: E05C1000 80862024
	v_mfma_f32_16x16x32_fp8_fp8 v[80:83], a[132:133], v[180:181], v[80:83]// 000000003EC8: D3F30050 0D436984
	v_mfma_f32_16x16x32_fp8_fp8 v[80:83], a[134:135], v[182:183], v[80:83]// 000000003ED0: D3F30050 0D436D86
	ds_read_b128 v[208:211], v2 offset:8320                    // 000000003ED8: D9FE2080 D0000002
	v_mfma_f32_16x16x32_fp8_fp8 v[80:83], a[136:137], v[184:185], v[80:83]// 000000003EE0: D3F30050 0D437188
	v_mfma_f32_16x16x32_fp8_fp8 v[80:83], a[138:139], v[186:187], v[80:83]// 000000003EE8: D3F30050 0D43758A
	buffer_load_dwordx4 a[36:39], v36, s[24:27], 0 offen offset:1024// 000000003EF0: E05C1400 80862424
	v_mfma_f32_16x16x32_fp8_fp8 v[80:83], a[140:141], v[188:189], v[80:83]// 000000003EF8: D3F30050 0D43798C
	v_mfma_f32_16x16x32_fp8_fp8 v[80:83], a[142:143], v[190:191], v[80:83]// 000000003F00: D3F30050 0D437D8E
	ds_read_b128 v[212:215], v2 offset:8384                    // 000000003F08: D9FE20C0 D4000002
	v_mfma_f32_16x16x32_fp8_fp8 v[84:87], a[128:129], v[192:193], v[84:87]// 000000003F10: D3F30054 0D538180
	v_mfma_f32_16x16x32_fp8_fp8 v[84:87], a[130:131], v[194:195], v[84:87]// 000000003F18: D3F30054 0D538582
	buffer_load_dwordx4 a[40:43], v36, s[24:27], 0 offen offset:2048// 000000003F20: E05C1800 80862824
	v_mfma_f32_16x16x32_fp8_fp8 v[84:87], a[132:133], v[196:197], v[84:87]// 000000003F28: D3F30054 0D538984
	v_mfma_f32_16x16x32_fp8_fp8 v[84:87], a[134:135], v[198:199], v[84:87]// 000000003F30: D3F30054 0D538D86
	ds_read_b128 v[216:219], v2 offset:8448                    // 000000003F38: D9FE2100 D8000002
	v_mfma_f32_16x16x32_fp8_fp8 v[84:87], a[136:137], v[200:201], v[84:87]// 000000003F40: D3F30054 0D539188
	v_mfma_f32_16x16x32_fp8_fp8 v[84:87], a[138:139], v[202:203], v[84:87]// 000000003F48: D3F30054 0D53958A
	buffer_load_dwordx4 a[44:47], v36, s[24:27], 0 offen offset:3072// 000000003F50: E05C1C00 80862C24
	v_mfma_f32_16x16x32_fp8_fp8 v[84:87], a[140:141], v[204:205], v[84:87]// 000000003F58: D3F30054 0D53998C
	v_mfma_f32_16x16x32_fp8_fp8 v[84:87], a[142:143], v[206:207], v[84:87]// 000000003F60: D3F30054 0D539D8E
	ds_read_b128 v[220:223], v2 offset:8512                    // 000000003F68: D9FE2140 DC000002
	s_waitcnt vmcnt(20)                                        // 000000003F70: BF8C4F74
	v_mfma_f32_16x16x32_fp8_fp8 v[88:91], a[144:145], v[176:177], v[88:91]// 000000003F74: D3F30058 0D636190
	v_mfma_f32_16x16x32_fp8_fp8 v[88:91], a[146:147], v[178:179], v[88:91]// 000000003F7C: D3F30058 0D636592
	buffer_load_dwordx4 a[48:51], v37, s[24:27], 0 offen       // 000000003F84: E05C1000 80863025
	v_mfma_f32_16x16x32_fp8_fp8 v[88:91], a[148:149], v[180:181], v[88:91]// 000000003F8C: D3F30058 0D636994
	v_mfma_f32_16x16x32_fp8_fp8 v[88:91], a[150:151], v[182:183], v[88:91]// 000000003F94: D3F30058 0D636D96
	ds_read_b128 v[224:227], v2 offset:9344                    // 000000003F9C: D9FE2480 E0000002
	v_mfma_f32_16x16x32_fp8_fp8 v[88:91], a[152:153], v[184:185], v[88:91]// 000000003FA4: D3F30058 0D637198
	v_mfma_f32_16x16x32_fp8_fp8 v[88:91], a[154:155], v[186:187], v[88:91]// 000000003FAC: D3F30058 0D63759A
	buffer_load_dwordx4 a[52:55], v37, s[24:27], 0 offen offset:1024// 000000003FB4: E05C1400 80863425
	v_mfma_f32_16x16x32_fp8_fp8 v[88:91], a[156:157], v[188:189], v[88:91]// 000000003FBC: D3F30058 0D63799C
	v_mfma_f32_16x16x32_fp8_fp8 v[88:91], a[158:159], v[190:191], v[88:91]// 000000003FC4: D3F30058 0D637D9E
	ds_read_b128 v[228:231], v2 offset:9408                    // 000000003FCC: D9FE24C0 E4000002
	v_mfma_f32_16x16x32_fp8_fp8 v[92:95], a[144:145], v[192:193], v[92:95]// 000000003FD4: D3F3005C 0D738190
	v_mfma_f32_16x16x32_fp8_fp8 v[92:95], a[146:147], v[194:195], v[92:95]// 000000003FDC: D3F3005C 0D738592
	buffer_load_dwordx4 a[56:59], v37, s[24:27], 0 offen offset:2048// 000000003FE4: E05C1800 80863825
	v_mfma_f32_16x16x32_fp8_fp8 v[92:95], a[148:149], v[196:197], v[92:95]// 000000003FEC: D3F3005C 0D738994
	v_mfma_f32_16x16x32_fp8_fp8 v[92:95], a[150:151], v[198:199], v[92:95]// 000000003FF4: D3F3005C 0D738D96
	ds_read_b128 v[232:235], v2 offset:9472                    // 000000003FFC: D9FE2500 E8000002
	v_mfma_f32_16x16x32_fp8_fp8 v[92:95], a[152:153], v[200:201], v[92:95]// 000000004004: D3F3005C 0D739198
	v_mfma_f32_16x16x32_fp8_fp8 v[92:95], a[154:155], v[202:203], v[92:95]// 00000000400C: D3F3005C 0D73959A
	buffer_load_dwordx4 a[60:63], v37, s[24:27], 0 offen offset:3072// 000000004014: E05C1C00 80863C25
	v_mfma_f32_16x16x32_fp8_fp8 v[92:95], a[156:157], v[204:205], v[92:95]// 00000000401C: D3F3005C 0D73999C
	v_mfma_f32_16x16x32_fp8_fp8 v[92:95], a[158:159], v[206:207], v[92:95]// 000000004024: D3F3005C 0D739D9E
	ds_read_b128 v[236:239], v2 offset:9536                    // 00000000402C: D9FE2540 EC000002
	s_waitcnt vmcnt(20)                                        // 000000004034: BF8C4F74
	v_mfma_f32_16x16x32_fp8_fp8 v[96:99], a[160:161], v[176:177], v[96:99]// 000000004038: D3F30060 0D8361A0
	v_mfma_f32_16x16x32_fp8_fp8 v[96:99], a[162:163], v[178:179], v[96:99]// 000000004040: D3F30060 0D8365A2
	buffer_load_dwordx4 a[64:67], v38, s[24:27], 0 offen       // 000000004048: E05C1000 80864026
	v_mfma_f32_16x16x32_fp8_fp8 v[96:99], a[164:165], v[180:181], v[96:99]// 000000004050: D3F30060 0D8369A4
	v_mfma_f32_16x16x32_fp8_fp8 v[96:99], a[166:167], v[182:183], v[96:99]// 000000004058: D3F30060 0D836DA6
	v_mfma_f32_16x16x32_fp8_fp8 v[96:99], a[168:169], v[184:185], v[96:99]// 000000004060: D3F30060 0D8371A8
	v_mfma_f32_16x16x32_fp8_fp8 v[96:99], a[170:171], v[186:187], v[96:99]// 000000004068: D3F30060 0D8375AA
	buffer_load_dwordx4 a[68:71], v38, s[24:27], 0 offen offset:1024// 000000004070: E05C1400 80864426
	v_mfma_f32_16x16x32_fp8_fp8 v[96:99], a[172:173], v[188:189], v[96:99]// 000000004078: D3F30060 0D8379AC
	v_mfma_f32_16x16x32_fp8_fp8 v[96:99], a[174:175], v[190:191], v[96:99]// 000000004080: D3F30060 0D837DAE
	v_mfma_f32_16x16x32_fp8_fp8 v[100:103], a[160:161], v[192:193], v[100:103]// 000000004088: D3F30064 0D9381A0
	v_mfma_f32_16x16x32_fp8_fp8 v[100:103], a[162:163], v[194:195], v[100:103]// 000000004090: D3F30064 0D9385A2
	buffer_load_dwordx4 a[72:75], v38, s[24:27], 0 offen offset:2048// 000000004098: E05C1800 80864826
	v_mfma_f32_16x16x32_fp8_fp8 v[100:103], a[164:165], v[196:197], v[100:103]// 0000000040A0: D3F30064 0D9389A4
	v_mfma_f32_16x16x32_fp8_fp8 v[100:103], a[166:167], v[198:199], v[100:103]// 0000000040A8: D3F30064 0D938DA6
	v_mfma_f32_16x16x32_fp8_fp8 v[100:103], a[168:169], v[200:201], v[100:103]// 0000000040B0: D3F30064 0D9391A8
	v_mfma_f32_16x16x32_fp8_fp8 v[100:103], a[170:171], v[202:203], v[100:103]// 0000000040B8: D3F30064 0D9395AA
	buffer_load_dwordx4 a[76:79], v38, s[24:27], 0 offen offset:3072// 0000000040C0: E05C1C00 80864C26
	v_mfma_f32_16x16x32_fp8_fp8 v[100:103], a[172:173], v[204:205], v[100:103]// 0000000040C8: D3F30064 0D9399AC
	v_mfma_f32_16x16x32_fp8_fp8 v[100:103], a[174:175], v[206:207], v[100:103]// 0000000040D0: D3F30064 0D939DAE
	s_waitcnt vmcnt(20)                                        // 0000000040D8: BF8C4F74
	v_mfma_f32_16x16x32_fp8_fp8 v[104:107], a[176:177], v[176:177], v[104:107]// 0000000040DC: D3F30068 0DA361B0
	v_mfma_f32_16x16x32_fp8_fp8 v[104:107], a[178:179], v[178:179], v[104:107]// 0000000040E4: D3F30068 0DA365B2
	buffer_load_dwordx4 a[80:83], v39, s[24:27], 0 offen       // 0000000040EC: E05C1000 80865027
	v_mfma_f32_16x16x32_fp8_fp8 v[104:107], a[180:181], v[180:181], v[104:107]// 0000000040F4: D3F30068 0DA369B4
	v_mfma_f32_16x16x32_fp8_fp8 v[104:107], a[182:183], v[182:183], v[104:107]// 0000000040FC: D3F30068 0DA36DB6
	v_mfma_f32_16x16x32_fp8_fp8 v[104:107], a[184:185], v[184:185], v[104:107]// 000000004104: D3F30068 0DA371B8
	v_mfma_f32_16x16x32_fp8_fp8 v[104:107], a[186:187], v[186:187], v[104:107]// 00000000410C: D3F30068 0DA375BA
	buffer_load_dwordx4 a[84:87], v39, s[24:27], 0 offen offset:1024// 000000004114: E05C1400 80865427
	v_mfma_f32_16x16x32_fp8_fp8 v[104:107], a[188:189], v[188:189], v[104:107]// 00000000411C: D3F30068 0DA379BC
	v_mfma_f32_16x16x32_fp8_fp8 v[104:107], a[190:191], v[190:191], v[104:107]// 000000004124: D3F30068 0DA37DBE
	v_mfma_f32_16x16x32_fp8_fp8 v[108:111], a[176:177], v[192:193], v[108:111]// 00000000412C: D3F3006C 0DB381B0
	v_mfma_f32_16x16x32_fp8_fp8 v[108:111], a[178:179], v[194:195], v[108:111]// 000000004134: D3F3006C 0DB385B2
	buffer_load_dwordx4 a[88:91], v39, s[24:27], 0 offen offset:2048// 00000000413C: E05C1800 80865827
	v_mfma_f32_16x16x32_fp8_fp8 v[108:111], a[180:181], v[196:197], v[108:111]// 000000004144: D3F3006C 0DB389B4
	v_mfma_f32_16x16x32_fp8_fp8 v[108:111], a[182:183], v[198:199], v[108:111]// 00000000414C: D3F3006C 0DB38DB6
	v_mfma_f32_16x16x32_fp8_fp8 v[108:111], a[184:185], v[200:201], v[108:111]// 000000004154: D3F3006C 0DB391B8
	v_mfma_f32_16x16x32_fp8_fp8 v[108:111], a[186:187], v[202:203], v[108:111]// 00000000415C: D3F3006C 0DB395BA
	buffer_load_dwordx4 a[92:95], v39, s[24:27], 0 offen offset:3072// 000000004164: E05C1C00 80865C27
	v_mfma_f32_16x16x32_fp8_fp8 v[108:111], a[188:189], v[204:205], v[108:111]// 00000000416C: D3F3006C 0DB399BC
	v_mfma_f32_16x16x32_fp8_fp8 v[108:111], a[190:191], v[206:207], v[108:111]// 000000004174: D3F3006C 0DB39DBE
	s_add_u32 s60, 0x200, s80                                  // 00000000417C: 803C50FF 00000200
	s_cmp_lt_u32 s60, s81                                      // 000000004184: BF0A513C
	s_cselect_b32 s57, s57, 0                                  // 000000004188: 85398039
	s_add_u32 s60, 0x200, s80                                  // 00000000418C: 803C50FF 00000200
	s_cmp_lt_u32 s60, s81                                      // 000000004194: BF0A513C
	s_cselect_b32 s58, s58, 0                                  // 000000004198: 853A803A
	s_add_u32 s20, s57, s20                                    // 00000000419C: 80141439
	s_addc_u32 s21, 0, s21                                     // 0000000041A0: 82151580
	s_add_u32 s24, s58, s24                                    // 0000000041A4: 8018183A
	s_addc_u32 s25, 0, s25                                     // 0000000041A8: 82191980
	s_add_u32 s92, s90, s92                                    // 0000000041AC: 805C5C5A
	s_addc_u32 s93, 0, s93                                     // 0000000041B0: 825D5D80
	s_addk_i32 s80, 0x100                                      // 0000000041B4: B7500100
	s_cmp_lt_i32 s80, s81                                      // 0000000041B8: BF045150
	s_cbranch_scc0 label_071D                                  // 0000000041BC: BF84022D
	s_waitcnt vmcnt(16) lgkmcnt(0)                             // 0000000041C0: BF8C4070
	s_barrier                                                  // 0000000041C4: BF8A0000
	v_mfma_f32_16x16x32_fp8_fp8 v[128:131], a[0:1], v[208:209], v[128:131]// 0000000041C8: D3F30080 0E03A100
	v_mfma_f32_16x16x32_fp8_fp8 v[128:131], a[2:3], v[210:211], v[128:131]// 0000000041D0: D3F30080 0E03A502
	buffer_load_dwordx4 a[96:99], v34, s[92:95], 0 offen       // 0000000041D8: E05C1000 80976022
	v_mfma_f32_16x16x32_fp8_fp8 v[128:131], a[4:5], v[212:213], v[128:131]// 0000000041E0: D3F30080 0E03A904
	v_mfma_f32_16x16x32_fp8_fp8 v[128:131], a[6:7], v[214:215], v[128:131]// 0000000041E8: D3F30080 0E03AD06
	buffer_load_dword v26, s[20:23], 0 offen lds               // 0000000041F0: E0511000 8005001A
	s_add_u32 m0, 0x100, s50                                   // 0000000041F8: 807C32FF 00000100
	v_mfma_f32_16x16x32_fp8_fp8 v[128:131], a[8:9], v[216:217], v[128:131]// 000000004200: D3F30080 0E03B108
	v_mfma_f32_16x16x32_fp8_fp8 v[128:131], a[10:11], v[218:219], v[128:131]// 000000004208: D3F30080 0E03B50A
	buffer_load_dwordx4 a[100:103], v34, s[92:95], 0 offen offset:1024// 000000004210: E05C1400 80976422
	v_mfma_f32_16x16x32_fp8_fp8 v[128:131], a[12:13], v[220:221], v[128:131]// 000000004218: D3F30080 0E03B90C
	v_mfma_f32_16x16x32_fp8_fp8 v[128:131], a[14:15], v[222:223], v[128:131]// 000000004220: D3F30080 0E03BD0E
	buffer_load_dword v27, s[20:23], 0 offen lds               // 000000004228: E0511000 8005001B
	s_add_u32 m0, 0x200, s50                                   // 000000004230: 807C32FF 00000200
	v_mfma_f32_16x16x32_fp8_fp8 v[132:135], a[0:1], v[224:225], v[132:135]// 000000004238: D3F30084 0E13C100
	v_mfma_f32_16x16x32_fp8_fp8 v[132:135], a[2:3], v[226:227], v[132:135]// 000000004240: D3F30084 0E13C502
	buffer_load_dwordx4 a[104:107], v34, s[92:95], 0 offen offset:2048// 000000004248: E05C1800 80976822
	v_mfma_f32_16x16x32_fp8_fp8 v[132:135], a[4:5], v[228:229], v[132:135]// 000000004250: D3F30084 0E13C904
	v_mfma_f32_16x16x32_fp8_fp8 v[132:135], a[6:7], v[230:231], v[132:135]// 000000004258: D3F30084 0E13CD06
	buffer_load_dword v28, s[20:23], 0 offen lds               // 000000004260: E0511000 8005001C
	s_add_u32 m0, 0x300, s50                                   // 000000004268: 807C32FF 00000300
	v_mfma_f32_16x16x32_fp8_fp8 v[132:135], a[8:9], v[232:233], v[132:135]// 000000004270: D3F30084 0E13D108
	v_mfma_f32_16x16x32_fp8_fp8 v[132:135], a[10:11], v[234:235], v[132:135]// 000000004278: D3F30084 0E13D50A
	buffer_load_dwordx4 a[108:111], v34, s[92:95], 0 offen offset:3072// 000000004280: E05C1C00 80976C22
	v_mfma_f32_16x16x32_fp8_fp8 v[132:135], a[12:13], v[236:237], v[132:135]// 000000004288: D3F30084 0E13D90C
	v_mfma_f32_16x16x32_fp8_fp8 v[132:135], a[14:15], v[238:239], v[132:135]// 000000004290: D3F30084 0E13DD0E
	buffer_load_dword v29, s[20:23], 0 offen lds               // 000000004298: E0511000 8005001D
	s_add_u32 m0, 0x400, s50                                   // 0000000042A0: 807C32FF 00000400
	v_mfma_f32_16x16x32_fp8_fp8 v[136:139], a[16:17], v[208:209], v[136:139]// 0000000042A8: D3F30088 0E23A110
	v_mfma_f32_16x16x32_fp8_fp8 v[136:139], a[18:19], v[210:211], v[136:139]// 0000000042B0: D3F30088 0E23A512
	buffer_load_dwordx4 a[112:115], v35, s[92:95], 0 offen     // 0000000042B8: E05C1000 80977023
	v_mfma_f32_16x16x32_fp8_fp8 v[136:139], a[20:21], v[212:213], v[136:139]// 0000000042C0: D3F30088 0E23A914
	v_mfma_f32_16x16x32_fp8_fp8 v[136:139], a[22:23], v[214:215], v[136:139]// 0000000042C8: D3F30088 0E23AD16
	buffer_load_dword v30, s[20:23], 0 offen lds               // 0000000042D0: E0511000 8005001E
	s_add_u32 m0, 0x500, s50                                   // 0000000042D8: 807C32FF 00000500
	v_mfma_f32_16x16x32_fp8_fp8 v[136:139], a[24:25], v[216:217], v[136:139]// 0000000042E0: D3F30088 0E23B118
	v_mfma_f32_16x16x32_fp8_fp8 v[136:139], a[26:27], v[218:219], v[136:139]// 0000000042E8: D3F30088 0E23B51A
	buffer_load_dwordx4 a[116:119], v35, s[92:95], 0 offen offset:1024// 0000000042F0: E05C1400 80977423
	v_mfma_f32_16x16x32_fp8_fp8 v[136:139], a[28:29], v[220:221], v[136:139]// 0000000042F8: D3F30088 0E23B91C
	v_mfma_f32_16x16x32_fp8_fp8 v[136:139], a[30:31], v[222:223], v[136:139]// 000000004300: D3F30088 0E23BD1E
	buffer_load_dword v31, s[20:23], 0 offen lds               // 000000004308: E0511000 8005001F
	s_add_u32 m0, 0x600, s50                                   // 000000004310: 807C32FF 00000600
	v_mfma_f32_16x16x32_fp8_fp8 v[140:143], a[16:17], v[224:225], v[140:143]// 000000004318: D3F3008C 0E33C110
	v_mfma_f32_16x16x32_fp8_fp8 v[140:143], a[18:19], v[226:227], v[140:143]// 000000004320: D3F3008C 0E33C512
	buffer_load_dwordx4 a[120:123], v35, s[92:95], 0 offen offset:2048// 000000004328: E05C1800 80977823
	v_mfma_f32_16x16x32_fp8_fp8 v[140:143], a[20:21], v[228:229], v[140:143]// 000000004330: D3F3008C 0E33C914
	v_mfma_f32_16x16x32_fp8_fp8 v[140:143], a[22:23], v[230:231], v[140:143]// 000000004338: D3F3008C 0E33CD16
	buffer_load_dword v32, s[20:23], 0 offen lds               // 000000004340: E0511000 80050020
	s_add_u32 m0, 0x700, s50                                   // 000000004348: 807C32FF 00000700
	v_mfma_f32_16x16x32_fp8_fp8 v[140:143], a[24:25], v[232:233], v[140:143]// 000000004350: D3F3008C 0E33D118
	v_mfma_f32_16x16x32_fp8_fp8 v[140:143], a[26:27], v[234:235], v[140:143]// 000000004358: D3F3008C 0E33D51A
	buffer_load_dwordx4 a[124:127], v35, s[92:95], 0 offen offset:3072// 000000004360: E05C1C00 80977C23
	v_mfma_f32_16x16x32_fp8_fp8 v[140:143], a[28:29], v[236:237], v[140:143]// 000000004368: D3F3008C 0E33D91C
	v_mfma_f32_16x16x32_fp8_fp8 v[140:143], a[30:31], v[238:239], v[140:143]// 000000004370: D3F3008C 0E33DD1E
	buffer_load_dword v33, s[20:23], 0 offen lds               // 000000004378: E0511000 80050021
	s_add_u32 m0, 0, s51                                       // 000000004380: 807C3380
	s_waitcnt vmcnt(28)                                        // 000000004384: BF8C4F7C
	v_mfma_f32_16x16x32_fp8_fp8 v[144:147], a[32:33], v[208:209], v[144:147]// 000000004388: D3F30090 0E43A120
	v_mfma_f32_16x16x32_fp8_fp8 v[144:147], a[34:35], v[210:211], v[144:147]// 000000004390: D3F30090 0E43A522
	buffer_load_dwordx4 a[128:131], v36, s[92:95], 0 offen     // 000000004398: E05C1000 80978024
	v_mfma_f32_16x16x32_fp8_fp8 v[144:147], a[36:37], v[212:213], v[144:147]// 0000000043A0: D3F30090 0E43A924
	v_mfma_f32_16x16x32_fp8_fp8 v[144:147], a[38:39], v[214:215], v[144:147]// 0000000043A8: D3F30090 0E43AD26
	v_mfma_f32_16x16x32_fp8_fp8 v[144:147], a[40:41], v[216:217], v[144:147]// 0000000043B0: D3F30090 0E43B128
	v_mfma_f32_16x16x32_fp8_fp8 v[144:147], a[42:43], v[218:219], v[144:147]// 0000000043B8: D3F30090 0E43B52A
	buffer_load_dwordx4 a[132:135], v36, s[92:95], 0 offen offset:1024// 0000000043C0: E05C1400 80978424
	v_mfma_f32_16x16x32_fp8_fp8 v[144:147], a[44:45], v[220:221], v[144:147]// 0000000043C8: D3F30090 0E43B92C
	v_mfma_f32_16x16x32_fp8_fp8 v[144:147], a[46:47], v[222:223], v[144:147]// 0000000043D0: D3F30090 0E43BD2E
	v_mfma_f32_16x16x32_fp8_fp8 v[148:151], a[32:33], v[224:225], v[148:151]// 0000000043D8: D3F30094 0E53C120
	v_mfma_f32_16x16x32_fp8_fp8 v[148:151], a[34:35], v[226:227], v[148:151]// 0000000043E0: D3F30094 0E53C522
	buffer_load_dwordx4 a[136:139], v36, s[92:95], 0 offen offset:2048// 0000000043E8: E05C1800 80978824
	v_mfma_f32_16x16x32_fp8_fp8 v[148:151], a[36:37], v[228:229], v[148:151]// 0000000043F0: D3F30094 0E53C924
	v_mfma_f32_16x16x32_fp8_fp8 v[148:151], a[38:39], v[230:231], v[148:151]// 0000000043F8: D3F30094 0E53CD26
	v_mfma_f32_16x16x32_fp8_fp8 v[148:151], a[40:41], v[232:233], v[148:151]// 000000004400: D3F30094 0E53D128
	v_mfma_f32_16x16x32_fp8_fp8 v[148:151], a[42:43], v[234:235], v[148:151]// 000000004408: D3F30094 0E53D52A
	buffer_load_dwordx4 a[140:143], v36, s[92:95], 0 offen offset:3072// 000000004410: E05C1C00 80978C24
	v_mfma_f32_16x16x32_fp8_fp8 v[148:151], a[44:45], v[236:237], v[148:151]// 000000004418: D3F30094 0E53D92C
	v_mfma_f32_16x16x32_fp8_fp8 v[148:151], a[46:47], v[238:239], v[148:151]// 000000004420: D3F30094 0E53DD2E
	s_waitcnt vmcnt(28)                                        // 000000004428: BF8C4F7C
	v_mfma_f32_16x16x32_fp8_fp8 v[152:155], a[48:49], v[208:209], v[152:155]// 00000000442C: D3F30098 0E63A130
	v_mfma_f32_16x16x32_fp8_fp8 v[152:155], a[50:51], v[210:211], v[152:155]// 000000004434: D3F30098 0E63A532
	buffer_load_dwordx4 a[144:147], v37, s[92:95], 0 offen     // 00000000443C: E05C1000 80979025
	v_mfma_f32_16x16x32_fp8_fp8 v[152:155], a[52:53], v[212:213], v[152:155]// 000000004444: D3F30098 0E63A934
	v_mfma_f32_16x16x32_fp8_fp8 v[152:155], a[54:55], v[214:215], v[152:155]// 00000000444C: D3F30098 0E63AD36
	v_mfma_f32_16x16x32_fp8_fp8 v[152:155], a[56:57], v[216:217], v[152:155]// 000000004454: D3F30098 0E63B138
	v_mfma_f32_16x16x32_fp8_fp8 v[152:155], a[58:59], v[218:219], v[152:155]// 00000000445C: D3F30098 0E63B53A
	buffer_load_dwordx4 a[148:151], v37, s[92:95], 0 offen offset:1024// 000000004464: E05C1400 80979425
	v_mfma_f32_16x16x32_fp8_fp8 v[152:155], a[60:61], v[220:221], v[152:155]// 00000000446C: D3F30098 0E63B93C
	v_mfma_f32_16x16x32_fp8_fp8 v[152:155], a[62:63], v[222:223], v[152:155]// 000000004474: D3F30098 0E63BD3E
	v_mfma_f32_16x16x32_fp8_fp8 v[156:159], a[48:49], v[224:225], v[156:159]// 00000000447C: D3F3009C 0E73C130
	v_mfma_f32_16x16x32_fp8_fp8 v[156:159], a[50:51], v[226:227], v[156:159]// 000000004484: D3F3009C 0E73C532
	buffer_load_dwordx4 a[152:155], v37, s[92:95], 0 offen offset:2048// 00000000448C: E05C1800 80979825
	v_mfma_f32_16x16x32_fp8_fp8 v[156:159], a[52:53], v[228:229], v[156:159]// 000000004494: D3F3009C 0E73C934
	v_mfma_f32_16x16x32_fp8_fp8 v[156:159], a[54:55], v[230:231], v[156:159]// 00000000449C: D3F3009C 0E73CD36
	v_mfma_f32_16x16x32_fp8_fp8 v[156:159], a[56:57], v[232:233], v[156:159]// 0000000044A4: D3F3009C 0E73D138
	v_mfma_f32_16x16x32_fp8_fp8 v[156:159], a[58:59], v[234:235], v[156:159]// 0000000044AC: D3F3009C 0E73D53A
	buffer_load_dwordx4 a[156:159], v37, s[92:95], 0 offen offset:3072// 0000000044B4: E05C1C00 80979C25
	v_mfma_f32_16x16x32_fp8_fp8 v[156:159], a[60:61], v[236:237], v[156:159]// 0000000044BC: D3F3009C 0E73D93C
	v_mfma_f32_16x16x32_fp8_fp8 v[156:159], a[62:63], v[238:239], v[156:159]// 0000000044C4: D3F3009C 0E73DD3E
	s_waitcnt vmcnt(28)                                        // 0000000044CC: BF8C4F7C
	v_mfma_f32_16x16x32_fp8_fp8 v[160:163], a[64:65], v[208:209], v[160:163]// 0000000044D0: D3F300A0 0E83A140
	v_mfma_f32_16x16x32_fp8_fp8 v[160:163], a[66:67], v[210:211], v[160:163]// 0000000044D8: D3F300A0 0E83A542
	buffer_load_dwordx4 a[160:163], v38, s[92:95], 0 offen     // 0000000044E0: E05C1000 8097A026
	v_mfma_f32_16x16x32_fp8_fp8 v[160:163], a[68:69], v[212:213], v[160:163]// 0000000044E8: D3F300A0 0E83A944
	v_mfma_f32_16x16x32_fp8_fp8 v[160:163], a[70:71], v[214:215], v[160:163]// 0000000044F0: D3F300A0 0E83AD46
	v_mfma_f32_16x16x32_fp8_fp8 v[160:163], a[72:73], v[216:217], v[160:163]// 0000000044F8: D3F300A0 0E83B148
	v_mfma_f32_16x16x32_fp8_fp8 v[160:163], a[74:75], v[218:219], v[160:163]// 000000004500: D3F300A0 0E83B54A
	buffer_load_dwordx4 a[164:167], v38, s[92:95], 0 offen offset:1024// 000000004508: E05C1400 8097A426
	v_mfma_f32_16x16x32_fp8_fp8 v[160:163], a[76:77], v[220:221], v[160:163]// 000000004510: D3F300A0 0E83B94C
	v_mfma_f32_16x16x32_fp8_fp8 v[160:163], a[78:79], v[222:223], v[160:163]// 000000004518: D3F300A0 0E83BD4E
	v_mfma_f32_16x16x32_fp8_fp8 v[164:167], a[64:65], v[224:225], v[164:167]// 000000004520: D3F300A4 0E93C140
	v_mfma_f32_16x16x32_fp8_fp8 v[164:167], a[66:67], v[226:227], v[164:167]// 000000004528: D3F300A4 0E93C542
	buffer_load_dwordx4 a[168:171], v38, s[92:95], 0 offen offset:2048// 000000004530: E05C1800 8097A826
	v_mfma_f32_16x16x32_fp8_fp8 v[164:167], a[68:69], v[228:229], v[164:167]// 000000004538: D3F300A4 0E93C944
	v_mfma_f32_16x16x32_fp8_fp8 v[164:167], a[70:71], v[230:231], v[164:167]// 000000004540: D3F300A4 0E93CD46
	v_mfma_f32_16x16x32_fp8_fp8 v[164:167], a[72:73], v[232:233], v[164:167]// 000000004548: D3F300A4 0E93D148
	v_mfma_f32_16x16x32_fp8_fp8 v[164:167], a[74:75], v[234:235], v[164:167]// 000000004550: D3F300A4 0E93D54A
	buffer_load_dwordx4 a[172:175], v38, s[92:95], 0 offen offset:3072// 000000004558: E05C1C00 8097AC26
	v_mfma_f32_16x16x32_fp8_fp8 v[164:167], a[76:77], v[236:237], v[164:167]// 000000004560: D3F300A4 0E93D94C
	v_mfma_f32_16x16x32_fp8_fp8 v[164:167], a[78:79], v[238:239], v[164:167]// 000000004568: D3F300A4 0E93DD4E
	s_waitcnt vmcnt(28)                                        // 000000004570: BF8C4F7C
	v_mfma_f32_16x16x32_fp8_fp8 v[168:171], a[80:81], v[208:209], v[168:171]// 000000004574: D3F300A8 0EA3A150
	v_mfma_f32_16x16x32_fp8_fp8 v[168:171], a[82:83], v[210:211], v[168:171]// 00000000457C: D3F300A8 0EA3A552
	buffer_load_dwordx4 a[176:179], v39, s[92:95], 0 offen     // 000000004584: E05C1000 8097B027
	v_mfma_f32_16x16x32_fp8_fp8 v[168:171], a[84:85], v[212:213], v[168:171]// 00000000458C: D3F300A8 0EA3A954
	v_mfma_f32_16x16x32_fp8_fp8 v[168:171], a[86:87], v[214:215], v[168:171]// 000000004594: D3F300A8 0EA3AD56
	v_mfma_f32_16x16x32_fp8_fp8 v[168:171], a[88:89], v[216:217], v[168:171]// 00000000459C: D3F300A8 0EA3B158
	v_mfma_f32_16x16x32_fp8_fp8 v[168:171], a[90:91], v[218:219], v[168:171]// 0000000045A4: D3F300A8 0EA3B55A
	buffer_load_dwordx4 a[180:183], v39, s[92:95], 0 offen offset:1024// 0000000045AC: E05C1400 8097B427
	v_mfma_f32_16x16x32_fp8_fp8 v[168:171], a[92:93], v[220:221], v[168:171]// 0000000045B4: D3F300A8 0EA3B95C
	v_mfma_f32_16x16x32_fp8_fp8 v[168:171], a[94:95], v[222:223], v[168:171]// 0000000045BC: D3F300A8 0EA3BD5E
	v_mfma_f32_16x16x32_fp8_fp8 v[172:175], a[80:81], v[224:225], v[172:175]// 0000000045C4: D3F300AC 0EB3C150
	v_mfma_f32_16x16x32_fp8_fp8 v[172:175], a[82:83], v[226:227], v[172:175]// 0000000045CC: D3F300AC 0EB3C552
	buffer_load_dwordx4 a[184:187], v39, s[92:95], 0 offen offset:2048// 0000000045D4: E05C1800 8097B827
	v_mfma_f32_16x16x32_fp8_fp8 v[172:175], a[84:85], v[228:229], v[172:175]// 0000000045DC: D3F300AC 0EB3C954
	v_mfma_f32_16x16x32_fp8_fp8 v[172:175], a[86:87], v[230:231], v[172:175]// 0000000045E4: D3F300AC 0EB3CD56
	v_mfma_f32_16x16x32_fp8_fp8 v[172:175], a[88:89], v[232:233], v[172:175]// 0000000045EC: D3F300AC 0EB3D158
	v_mfma_f32_16x16x32_fp8_fp8 v[172:175], a[90:91], v[234:235], v[172:175]// 0000000045F4: D3F300AC 0EB3D55A
	buffer_load_dwordx4 a[188:191], v39, s[92:95], 0 offen offset:3072// 0000000045FC: E05C1C00 8097BC27
	v_mfma_f32_16x16x32_fp8_fp8 v[172:175], a[92:93], v[236:237], v[172:175]// 000000004604: D3F300AC 0EB3D95C
	v_mfma_f32_16x16x32_fp8_fp8 v[172:175], a[94:95], v[238:239], v[172:175]// 00000000460C: D3F300AC 0EB3DD5E
	s_waitcnt vmcnt(16)                                        // 000000004614: BF8C4F70
	s_barrier                                                  // 000000004618: BF8A0000
	v_mfma_f32_16x16x32_fp8_fp8 v[64:67], a[96:97], v[208:209], v[64:67]// 00000000461C: D3F30040 0D03A160
	v_mfma_f32_16x16x32_fp8_fp8 v[64:67], a[98:99], v[210:211], v[64:67]// 000000004624: D3F30040 0D03A562
	buffer_load_dwordx4 a[0:3], v34, s[24:27], 0 offen         // 00000000462C: E05C1000 80860022
	v_mfma_f32_16x16x32_fp8_fp8 v[64:67], a[100:101], v[212:213], v[64:67]// 000000004634: D3F30040 0D03A964
	v_mfma_f32_16x16x32_fp8_fp8 v[64:67], a[102:103], v[214:215], v[64:67]// 00000000463C: D3F30040 0D03AD66
	v_mfma_f32_16x16x32_fp8_fp8 v[64:67], a[104:105], v[216:217], v[64:67]// 000000004644: D3F30040 0D03B168
	v_mfma_f32_16x16x32_fp8_fp8 v[64:67], a[106:107], v[218:219], v[64:67]// 00000000464C: D3F30040 0D03B56A
	buffer_load_dwordx4 a[4:7], v34, s[24:27], 0 offen offset:1024// 000000004654: E05C1400 80860422
	v_mfma_f32_16x16x32_fp8_fp8 v[64:67], a[108:109], v[220:221], v[64:67]// 00000000465C: D3F30040 0D03B96C
	v_mfma_f32_16x16x32_fp8_fp8 v[64:67], a[110:111], v[222:223], v[64:67]// 000000004664: D3F30040 0D03BD6E
	v_mfma_f32_16x16x32_fp8_fp8 v[68:71], a[96:97], v[224:225], v[68:71]// 00000000466C: D3F30044 0D13C160
	v_mfma_f32_16x16x32_fp8_fp8 v[68:71], a[98:99], v[226:227], v[68:71]// 000000004674: D3F30044 0D13C562
	buffer_load_dwordx4 a[8:11], v34, s[24:27], 0 offen offset:2048// 00000000467C: E05C1800 80860822
	v_mfma_f32_16x16x32_fp8_fp8 v[68:71], a[100:101], v[228:229], v[68:71]// 000000004684: D3F30044 0D13C964
	v_mfma_f32_16x16x32_fp8_fp8 v[68:71], a[102:103], v[230:231], v[68:71]// 00000000468C: D3F30044 0D13CD66
	v_mfma_f32_16x16x32_fp8_fp8 v[68:71], a[104:105], v[232:233], v[68:71]// 000000004694: D3F30044 0D13D168
	v_mfma_f32_16x16x32_fp8_fp8 v[68:71], a[106:107], v[234:235], v[68:71]// 00000000469C: D3F30044 0D13D56A
	buffer_load_dwordx4 a[12:15], v34, s[24:27], 0 offen offset:3072// 0000000046A4: E05C1C00 80860C22
	v_mfma_f32_16x16x32_fp8_fp8 v[68:71], a[108:109], v[236:237], v[68:71]// 0000000046AC: D3F30044 0D13D96C
	v_mfma_f32_16x16x32_fp8_fp8 v[68:71], a[110:111], v[238:239], v[68:71]// 0000000046B4: D3F30044 0D13DD6E
	v_mfma_f32_16x16x32_fp8_fp8 v[72:75], a[112:113], v[208:209], v[72:75]// 0000000046BC: D3F30048 0D23A170
	v_mfma_f32_16x16x32_fp8_fp8 v[72:75], a[114:115], v[210:211], v[72:75]// 0000000046C4: D3F30048 0D23A572
	buffer_load_dwordx4 a[16:19], v35, s[24:27], 0 offen       // 0000000046CC: E05C1000 80861023
	v_mfma_f32_16x16x32_fp8_fp8 v[72:75], a[116:117], v[212:213], v[72:75]// 0000000046D4: D3F30048 0D23A974
	v_mfma_f32_16x16x32_fp8_fp8 v[72:75], a[118:119], v[214:215], v[72:75]// 0000000046DC: D3F30048 0D23AD76
	v_mfma_f32_16x16x32_fp8_fp8 v[72:75], a[120:121], v[216:217], v[72:75]// 0000000046E4: D3F30048 0D23B178
	v_mfma_f32_16x16x32_fp8_fp8 v[72:75], a[122:123], v[218:219], v[72:75]// 0000000046EC: D3F30048 0D23B57A
	buffer_load_dwordx4 a[20:23], v35, s[24:27], 0 offen offset:1024// 0000000046F4: E05C1400 80861423
	v_mfma_f32_16x16x32_fp8_fp8 v[72:75], a[124:125], v[220:221], v[72:75]// 0000000046FC: D3F30048 0D23B97C
	v_mfma_f32_16x16x32_fp8_fp8 v[72:75], a[126:127], v[222:223], v[72:75]// 000000004704: D3F30048 0D23BD7E
	v_mfma_f32_16x16x32_fp8_fp8 v[76:79], a[112:113], v[224:225], v[76:79]// 00000000470C: D3F3004C 0D33C170
	v_mfma_f32_16x16x32_fp8_fp8 v[76:79], a[114:115], v[226:227], v[76:79]// 000000004714: D3F3004C 0D33C572
	buffer_load_dwordx4 a[24:27], v35, s[24:27], 0 offen offset:2048// 00000000471C: E05C1800 80861823
	v_mfma_f32_16x16x32_fp8_fp8 v[76:79], a[116:117], v[228:229], v[76:79]// 000000004724: D3F3004C 0D33C974
	v_mfma_f32_16x16x32_fp8_fp8 v[76:79], a[118:119], v[230:231], v[76:79]// 00000000472C: D3F3004C 0D33CD76
	v_mfma_f32_16x16x32_fp8_fp8 v[76:79], a[120:121], v[232:233], v[76:79]// 000000004734: D3F3004C 0D33D178
	v_mfma_f32_16x16x32_fp8_fp8 v[76:79], a[122:123], v[234:235], v[76:79]// 00000000473C: D3F3004C 0D33D57A
	buffer_load_dwordx4 a[28:31], v35, s[24:27], 0 offen offset:3072// 000000004744: E05C1C00 80861C23
	v_mfma_f32_16x16x32_fp8_fp8 v[76:79], a[124:125], v[236:237], v[76:79]// 00000000474C: D3F3004C 0D33D97C
	v_mfma_f32_16x16x32_fp8_fp8 v[76:79], a[126:127], v[238:239], v[76:79]// 000000004754: D3F3004C 0D33DD7E
	s_waitcnt vmcnt(20)                                        // 00000000475C: BF8C4F74
	v_mfma_f32_16x16x32_fp8_fp8 v[80:83], a[128:129], v[208:209], v[80:83]// 000000004760: D3F30050 0D43A180
	v_mfma_f32_16x16x32_fp8_fp8 v[80:83], a[130:131], v[210:211], v[80:83]// 000000004768: D3F30050 0D43A582
	buffer_load_dwordx4 a[32:35], v36, s[24:27], 0 offen       // 000000004770: E05C1000 80862024
	v_mfma_f32_16x16x32_fp8_fp8 v[80:83], a[132:133], v[212:213], v[80:83]// 000000004778: D3F30050 0D43A984
	v_mfma_f32_16x16x32_fp8_fp8 v[80:83], a[134:135], v[214:215], v[80:83]// 000000004780: D3F30050 0D43AD86
	ds_read_b128 v[176:179], v2                                // 000000004788: D9FE0000 B0000002
	v_mfma_f32_16x16x32_fp8_fp8 v[80:83], a[136:137], v[216:217], v[80:83]// 000000004790: D3F30050 0D43B188
	v_mfma_f32_16x16x32_fp8_fp8 v[80:83], a[138:139], v[218:219], v[80:83]// 000000004798: D3F30050 0D43B58A
	buffer_load_dwordx4 a[36:39], v36, s[24:27], 0 offen offset:1024// 0000000047A0: E05C1400 80862424
	v_mfma_f32_16x16x32_fp8_fp8 v[80:83], a[140:141], v[220:221], v[80:83]// 0000000047A8: D3F30050 0D43B98C
	v_mfma_f32_16x16x32_fp8_fp8 v[80:83], a[142:143], v[222:223], v[80:83]// 0000000047B0: D3F30050 0D43BD8E
	ds_read_b128 v[180:183], v2 offset:64                      // 0000000047B8: D9FE0040 B4000002
	v_mfma_f32_16x16x32_fp8_fp8 v[84:87], a[128:129], v[224:225], v[84:87]// 0000000047C0: D3F30054 0D53C180
	v_mfma_f32_16x16x32_fp8_fp8 v[84:87], a[130:131], v[226:227], v[84:87]// 0000000047C8: D3F30054 0D53C582
	buffer_load_dwordx4 a[40:43], v36, s[24:27], 0 offen offset:2048// 0000000047D0: E05C1800 80862824
	v_mfma_f32_16x16x32_fp8_fp8 v[84:87], a[132:133], v[228:229], v[84:87]// 0000000047D8: D3F30054 0D53C984
	v_mfma_f32_16x16x32_fp8_fp8 v[84:87], a[134:135], v[230:231], v[84:87]// 0000000047E0: D3F30054 0D53CD86
	ds_read_b128 v[184:187], v2 offset:128                     // 0000000047E8: D9FE0080 B8000002
	v_mfma_f32_16x16x32_fp8_fp8 v[84:87], a[136:137], v[232:233], v[84:87]// 0000000047F0: D3F30054 0D53D188
	v_mfma_f32_16x16x32_fp8_fp8 v[84:87], a[138:139], v[234:235], v[84:87]// 0000000047F8: D3F30054 0D53D58A
	buffer_load_dwordx4 a[44:47], v36, s[24:27], 0 offen offset:3072// 000000004800: E05C1C00 80862C24
	v_mfma_f32_16x16x32_fp8_fp8 v[84:87], a[140:141], v[236:237], v[84:87]// 000000004808: D3F30054 0D53D98C
	v_mfma_f32_16x16x32_fp8_fp8 v[84:87], a[142:143], v[238:239], v[84:87]// 000000004810: D3F30054 0D53DD8E
	ds_read_b128 v[188:191], v2 offset:192                     // 000000004818: D9FE00C0 BC000002
	s_waitcnt vmcnt(20)                                        // 000000004820: BF8C4F74
	v_mfma_f32_16x16x32_fp8_fp8 v[88:91], a[144:145], v[208:209], v[88:91]// 000000004824: D3F30058 0D63A190
	v_mfma_f32_16x16x32_fp8_fp8 v[88:91], a[146:147], v[210:211], v[88:91]// 00000000482C: D3F30058 0D63A592
	buffer_load_dwordx4 a[48:51], v37, s[24:27], 0 offen       // 000000004834: E05C1000 80863025
	v_mfma_f32_16x16x32_fp8_fp8 v[88:91], a[148:149], v[212:213], v[88:91]// 00000000483C: D3F30058 0D63A994
	v_mfma_f32_16x16x32_fp8_fp8 v[88:91], a[150:151], v[214:215], v[88:91]// 000000004844: D3F30058 0D63AD96
	ds_read_b128 v[192:195], v2 offset:1024                    // 00000000484C: D9FE0400 C0000002
	v_mfma_f32_16x16x32_fp8_fp8 v[88:91], a[152:153], v[216:217], v[88:91]// 000000004854: D3F30058 0D63B198
	v_mfma_f32_16x16x32_fp8_fp8 v[88:91], a[154:155], v[218:219], v[88:91]// 00000000485C: D3F30058 0D63B59A
	buffer_load_dwordx4 a[52:55], v37, s[24:27], 0 offen offset:1024// 000000004864: E05C1400 80863425
	v_mfma_f32_16x16x32_fp8_fp8 v[88:91], a[156:157], v[220:221], v[88:91]// 00000000486C: D3F30058 0D63B99C
	v_mfma_f32_16x16x32_fp8_fp8 v[88:91], a[158:159], v[222:223], v[88:91]// 000000004874: D3F30058 0D63BD9E
	ds_read_b128 v[196:199], v2 offset:1088                    // 00000000487C: D9FE0440 C4000002
	v_mfma_f32_16x16x32_fp8_fp8 v[92:95], a[144:145], v[224:225], v[92:95]// 000000004884: D3F3005C 0D73C190
	v_mfma_f32_16x16x32_fp8_fp8 v[92:95], a[146:147], v[226:227], v[92:95]// 00000000488C: D3F3005C 0D73C592
	buffer_load_dwordx4 a[56:59], v37, s[24:27], 0 offen offset:2048// 000000004894: E05C1800 80863825
	v_mfma_f32_16x16x32_fp8_fp8 v[92:95], a[148:149], v[228:229], v[92:95]// 00000000489C: D3F3005C 0D73C994
	v_mfma_f32_16x16x32_fp8_fp8 v[92:95], a[150:151], v[230:231], v[92:95]// 0000000048A4: D3F3005C 0D73CD96
	ds_read_b128 v[200:203], v2 offset:1152                    // 0000000048AC: D9FE0480 C8000002
	v_mfma_f32_16x16x32_fp8_fp8 v[92:95], a[152:153], v[232:233], v[92:95]// 0000000048B4: D3F3005C 0D73D198
	v_mfma_f32_16x16x32_fp8_fp8 v[92:95], a[154:155], v[234:235], v[92:95]// 0000000048BC: D3F3005C 0D73D59A
	buffer_load_dwordx4 a[60:63], v37, s[24:27], 0 offen offset:3072// 0000000048C4: E05C1C00 80863C25
	v_mfma_f32_16x16x32_fp8_fp8 v[92:95], a[156:157], v[236:237], v[92:95]// 0000000048CC: D3F3005C 0D73D99C
	v_mfma_f32_16x16x32_fp8_fp8 v[92:95], a[158:159], v[238:239], v[92:95]// 0000000048D4: D3F3005C 0D73DD9E
	ds_read_b128 v[204:207], v2 offset:1216                    // 0000000048DC: D9FE04C0 CC000002
	s_waitcnt vmcnt(20)                                        // 0000000048E4: BF8C4F74
	v_mfma_f32_16x16x32_fp8_fp8 v[96:99], a[160:161], v[208:209], v[96:99]// 0000000048E8: D3F30060 0D83A1A0
	v_mfma_f32_16x16x32_fp8_fp8 v[96:99], a[162:163], v[210:211], v[96:99]// 0000000048F0: D3F30060 0D83A5A2
	buffer_load_dwordx4 a[64:67], v38, s[24:27], 0 offen       // 0000000048F8: E05C1000 80864026
	v_mfma_f32_16x16x32_fp8_fp8 v[96:99], a[164:165], v[212:213], v[96:99]// 000000004900: D3F30060 0D83A9A4
	v_mfma_f32_16x16x32_fp8_fp8 v[96:99], a[166:167], v[214:215], v[96:99]// 000000004908: D3F30060 0D83ADA6
	v_mfma_f32_16x16x32_fp8_fp8 v[96:99], a[168:169], v[216:217], v[96:99]// 000000004910: D3F30060 0D83B1A8
	v_mfma_f32_16x16x32_fp8_fp8 v[96:99], a[170:171], v[218:219], v[96:99]// 000000004918: D3F30060 0D83B5AA
	buffer_load_dwordx4 a[68:71], v38, s[24:27], 0 offen offset:1024// 000000004920: E05C1400 80864426
	v_mfma_f32_16x16x32_fp8_fp8 v[96:99], a[172:173], v[220:221], v[96:99]// 000000004928: D3F30060 0D83B9AC
	v_mfma_f32_16x16x32_fp8_fp8 v[96:99], a[174:175], v[222:223], v[96:99]// 000000004930: D3F30060 0D83BDAE
	v_mfma_f32_16x16x32_fp8_fp8 v[100:103], a[160:161], v[224:225], v[100:103]// 000000004938: D3F30064 0D93C1A0
	v_mfma_f32_16x16x32_fp8_fp8 v[100:103], a[162:163], v[226:227], v[100:103]// 000000004940: D3F30064 0D93C5A2
	buffer_load_dwordx4 a[72:75], v38, s[24:27], 0 offen offset:2048// 000000004948: E05C1800 80864826
	v_mfma_f32_16x16x32_fp8_fp8 v[100:103], a[164:165], v[228:229], v[100:103]// 000000004950: D3F30064 0D93C9A4
	v_mfma_f32_16x16x32_fp8_fp8 v[100:103], a[166:167], v[230:231], v[100:103]// 000000004958: D3F30064 0D93CDA6
	v_mfma_f32_16x16x32_fp8_fp8 v[100:103], a[168:169], v[232:233], v[100:103]// 000000004960: D3F30064 0D93D1A8
	v_mfma_f32_16x16x32_fp8_fp8 v[100:103], a[170:171], v[234:235], v[100:103]// 000000004968: D3F30064 0D93D5AA
	buffer_load_dwordx4 a[76:79], v38, s[24:27], 0 offen offset:3072// 000000004970: E05C1C00 80864C26
	v_mfma_f32_16x16x32_fp8_fp8 v[100:103], a[172:173], v[236:237], v[100:103]// 000000004978: D3F30064 0D93D9AC
	v_mfma_f32_16x16x32_fp8_fp8 v[100:103], a[174:175], v[238:239], v[100:103]// 000000004980: D3F30064 0D93DDAE
	s_waitcnt vmcnt(20)                                        // 000000004988: BF8C4F74
	v_mfma_f32_16x16x32_fp8_fp8 v[104:107], a[176:177], v[208:209], v[104:107]// 00000000498C: D3F30068 0DA3A1B0
	v_mfma_f32_16x16x32_fp8_fp8 v[104:107], a[178:179], v[210:211], v[104:107]// 000000004994: D3F30068 0DA3A5B2
	buffer_load_dwordx4 a[80:83], v39, s[24:27], 0 offen       // 00000000499C: E05C1000 80865027
	v_mfma_f32_16x16x32_fp8_fp8 v[104:107], a[180:181], v[212:213], v[104:107]// 0000000049A4: D3F30068 0DA3A9B4
	v_mfma_f32_16x16x32_fp8_fp8 v[104:107], a[182:183], v[214:215], v[104:107]// 0000000049AC: D3F30068 0DA3ADB6
	v_mfma_f32_16x16x32_fp8_fp8 v[104:107], a[184:185], v[216:217], v[104:107]// 0000000049B4: D3F30068 0DA3B1B8
	v_mfma_f32_16x16x32_fp8_fp8 v[104:107], a[186:187], v[218:219], v[104:107]// 0000000049BC: D3F30068 0DA3B5BA
	buffer_load_dwordx4 a[84:87], v39, s[24:27], 0 offen offset:1024// 0000000049C4: E05C1400 80865427
	v_mfma_f32_16x16x32_fp8_fp8 v[104:107], a[188:189], v[220:221], v[104:107]// 0000000049CC: D3F30068 0DA3B9BC
	v_mfma_f32_16x16x32_fp8_fp8 v[104:107], a[190:191], v[222:223], v[104:107]// 0000000049D4: D3F30068 0DA3BDBE
	v_mfma_f32_16x16x32_fp8_fp8 v[108:111], a[176:177], v[224:225], v[108:111]// 0000000049DC: D3F3006C 0DB3C1B0
	v_mfma_f32_16x16x32_fp8_fp8 v[108:111], a[178:179], v[226:227], v[108:111]// 0000000049E4: D3F3006C 0DB3C5B2
	buffer_load_dwordx4 a[88:91], v39, s[24:27], 0 offen offset:2048// 0000000049EC: E05C1800 80865827
	v_mfma_f32_16x16x32_fp8_fp8 v[108:111], a[180:181], v[228:229], v[108:111]// 0000000049F4: D3F3006C 0DB3C9B4
	v_mfma_f32_16x16x32_fp8_fp8 v[108:111], a[182:183], v[230:231], v[108:111]// 0000000049FC: D3F3006C 0DB3CDB6
	v_mfma_f32_16x16x32_fp8_fp8 v[108:111], a[184:185], v[232:233], v[108:111]// 000000004A04: D3F3006C 0DB3D1B8
	v_mfma_f32_16x16x32_fp8_fp8 v[108:111], a[186:187], v[234:235], v[108:111]// 000000004A0C: D3F3006C 0DB3D5BA
	buffer_load_dwordx4 a[92:95], v39, s[24:27], 0 offen offset:3072// 000000004A14: E05C1C00 80865C27
	v_mfma_f32_16x16x32_fp8_fp8 v[108:111], a[188:189], v[236:237], v[108:111]// 000000004A1C: D3F3006C 0DB3D9BC
	v_mfma_f32_16x16x32_fp8_fp8 v[108:111], a[190:191], v[238:239], v[108:111]// 000000004A24: D3F3006C 0DB3DDBE
	s_add_u32 s60, 0x200, s80                                  // 000000004A2C: 803C50FF 00000200
	s_cmp_lt_u32 s60, s81                                      // 000000004A34: BF0A513C
	s_cselect_b32 s57, s57, 0                                  // 000000004A38: 85398039
	s_add_u32 s60, 0x200, s80                                  // 000000004A3C: 803C50FF 00000200
	s_cmp_lt_u32 s60, s81                                      // 000000004A44: BF0A513C
	s_cselect_b32 s58, s58, 0                                  // 000000004A48: 853A803A
	s_add_u32 s20, s57, s20                                    // 000000004A4C: 80141439
	s_addc_u32 s21, 0, s21                                     // 000000004A50: 82151580
	s_add_u32 s24, s58, s24                                    // 000000004A54: 8018183A
	s_addc_u32 s25, 0, s25                                     // 000000004A58: 82191980
	s_add_u32 s92, s90, s92                                    // 000000004A5C: 805C5C5A
	s_addc_u32 s93, 0, s93                                     // 000000004A60: 825D5D80
	s_addk_i32 s80, 0x100                                      // 000000004A64: B7500100
	s_cmp_lt_i32 s80, s81                                      // 000000004A68: BF045150
	s_cbranch_scc0 label_071D                                  // 000000004A6C: BF840001
	s_branch label_02C4                                        // 000000004A70: BF82FBA7

0000000000004a74 <label_071D>:
	s_mov_b32 s36, -1                                          // 000000004A74: BEA400C1
	s_mov_b32 s37, -1                                          // 000000004A78: BEA500C1
	s_mov_b64 s[60:61], 0                                      // 000000004A7C: BEBC0180
	s_cmp_lt_u32 s82, s66                                      // 000000004A80: BF0A4252
	s_cselect_b64 s[20:21], s[36:37], s[60:61]                 // 000000004A84: 85943C24
	s_cmp_lt_u32 s83, s66                                      // 000000004A88: BF0A4253
	s_cselect_b64 s[22:23], s[36:37], s[60:61]                 // 000000004A8C: 85963C24
	s_cmp_lt_u32 s84, s66                                      // 000000004A90: BF0A4254
	s_cselect_b64 s[24:25], s[36:37], s[60:61]                 // 000000004A94: 85983C24
	s_cmp_lt_u32 s85, s66                                      // 000000004A98: BF0A4255
	s_cselect_b64 s[26:27], s[36:37], s[60:61]                 // 000000004A9C: 859A3C24
	s_cmp_lt_u32 s86, s66                                      // 000000004AA0: BF0A4256
	s_cselect_b64 s[28:29], s[36:37], s[60:61]                 // 000000004AA4: 859C3C24
	s_cmp_lt_u32 s87, s66                                      // 000000004AA8: BF0A4257
	s_cselect_b64 s[30:31], s[36:37], s[60:61]                 // 000000004AAC: 859E3C24
	s_cmp_lt_u32 s88, s66                                      // 000000004AB0: BF0A4258
	s_cselect_b64 s[32:33], s[36:37], s[60:61]                 // 000000004AB4: 85A03C24
	s_cmp_lt_u32 s89, s66                                      // 000000004AB8: BF0A4259
	s_cselect_b64 s[34:35], s[36:37], s[60:61]                 // 000000004ABC: 85A23C24
	v_mul_f32_e32 v128, v14, v128                              // 000000004AC0: 0B01010E
	v_mul_f32_e32 v129, v14, v129                              // 000000004AC4: 0B03030E
	v_mul_f32_e32 v130, v14, v130                              // 000000004AC8: 0B05050E
	v_mul_f32_e32 v131, v14, v131                              // 000000004ACC: 0B07070E
	v_mul_f32_dpp v128, v16, v128 row_newbcast:0 row_mask:0xf bank_mask:0xf// 000000004AD0: 0B0100FA FF015010
	v_mul_f32_dpp v129, v16, v129 row_newbcast:1 row_mask:0xf bank_mask:0xf// 000000004AD8: 0B0302FA FF015110
	v_mul_f32_dpp v130, v16, v130 row_newbcast:2 row_mask:0xf bank_mask:0xf// 000000004AE0: 0B0504FA FF015210
	v_mul_f32_dpp v131, v16, v131 row_newbcast:3 row_mask:0xf bank_mask:0xf// 000000004AE8: 0B0706FA FF015310
	v_mul_f32_e32 v132, v15, v132                              // 000000004AF0: 0B09090F
	v_mul_f32_e32 v133, v15, v133                              // 000000004AF4: 0B0B0B0F
	v_mul_f32_e32 v134, v15, v134                              // 000000004AF8: 0B0D0D0F
	v_mul_f32_e32 v135, v15, v135                              // 000000004AFC: 0B0F0F0F
	v_mul_f32_dpp v132, v16, v132 row_newbcast:0 row_mask:0xf bank_mask:0xf// 000000004B00: 0B0908FA FF015010
	v_mul_f32_dpp v133, v16, v133 row_newbcast:1 row_mask:0xf bank_mask:0xf// 000000004B08: 0B0B0AFA FF015110
	v_mul_f32_dpp v134, v16, v134 row_newbcast:2 row_mask:0xf bank_mask:0xf// 000000004B10: 0B0D0CFA FF015210
	v_mul_f32_dpp v135, v16, v135 row_newbcast:3 row_mask:0xf bank_mask:0xf// 000000004B18: 0B0F0EFA FF015310
	v_mul_f32_e32 v136, v14, v136                              // 000000004B20: 0B11110E
	v_mul_f32_e32 v137, v14, v137                              // 000000004B24: 0B13130E
	v_mul_f32_e32 v138, v14, v138                              // 000000004B28: 0B15150E
	v_mul_f32_e32 v139, v14, v139                              // 000000004B2C: 0B17170E
	v_mul_f32_dpp v136, v16, v136 row_newbcast:4 row_mask:0xf bank_mask:0xf// 000000004B30: 0B1110FA FF015410
	v_mul_f32_dpp v137, v16, v137 row_newbcast:5 row_mask:0xf bank_mask:0xf// 000000004B38: 0B1312FA FF015510
	v_mul_f32_dpp v138, v16, v138 row_newbcast:6 row_mask:0xf bank_mask:0xf// 000000004B40: 0B1514FA FF015610
	v_mul_f32_dpp v139, v16, v139 row_newbcast:7 row_mask:0xf bank_mask:0xf// 000000004B48: 0B1716FA FF015710
	v_mul_f32_e32 v140, v15, v140                              // 000000004B50: 0B19190F
	v_mul_f32_e32 v141, v15, v141                              // 000000004B54: 0B1B1B0F
	v_mul_f32_e32 v142, v15, v142                              // 000000004B58: 0B1D1D0F
	v_mul_f32_e32 v143, v15, v143                              // 000000004B5C: 0B1F1F0F
	v_mul_f32_dpp v140, v16, v140 row_newbcast:4 row_mask:0xf bank_mask:0xf// 000000004B60: 0B1918FA FF015410
	v_mul_f32_dpp v141, v16, v141 row_newbcast:5 row_mask:0xf bank_mask:0xf// 000000004B68: 0B1B1AFA FF015510
	v_mul_f32_dpp v142, v16, v142 row_newbcast:6 row_mask:0xf bank_mask:0xf// 000000004B70: 0B1D1CFA FF015610
	v_mul_f32_dpp v143, v16, v143 row_newbcast:7 row_mask:0xf bank_mask:0xf// 000000004B78: 0B1F1EFA FF015710
	v_mul_f32_e32 v144, v14, v144                              // 000000004B80: 0B21210E
	v_mul_f32_e32 v145, v14, v145                              // 000000004B84: 0B23230E
	v_mul_f32_e32 v146, v14, v146                              // 000000004B88: 0B25250E
	v_mul_f32_e32 v147, v14, v147                              // 000000004B8C: 0B27270E
	v_mul_f32_dpp v144, v16, v144 row_newbcast:8 row_mask:0xf bank_mask:0xf// 000000004B90: 0B2120FA FF015810
	v_mul_f32_dpp v145, v16, v145 row_newbcast:9 row_mask:0xf bank_mask:0xf// 000000004B98: 0B2322FA FF015910
	v_mul_f32_dpp v146, v16, v146 row_newbcast:10 row_mask:0xf bank_mask:0xf// 000000004BA0: 0B2524FA FF015A10
	v_mul_f32_dpp v147, v16, v147 row_newbcast:11 row_mask:0xf bank_mask:0xf// 000000004BA8: 0B2726FA FF015B10
	v_mul_f32_e32 v148, v15, v148                              // 000000004BB0: 0B29290F
	v_mul_f32_e32 v149, v15, v149                              // 000000004BB4: 0B2B2B0F
	v_mul_f32_e32 v150, v15, v150                              // 000000004BB8: 0B2D2D0F
	v_mul_f32_e32 v151, v15, v151                              // 000000004BBC: 0B2F2F0F
	v_mul_f32_dpp v148, v16, v148 row_newbcast:8 row_mask:0xf bank_mask:0xf// 000000004BC0: 0B2928FA FF015810
	v_mul_f32_dpp v149, v16, v149 row_newbcast:9 row_mask:0xf bank_mask:0xf// 000000004BC8: 0B2B2AFA FF015910
	v_mul_f32_dpp v150, v16, v150 row_newbcast:10 row_mask:0xf bank_mask:0xf// 000000004BD0: 0B2D2CFA FF015A10
	v_mul_f32_dpp v151, v16, v151 row_newbcast:11 row_mask:0xf bank_mask:0xf// 000000004BD8: 0B2F2EFA FF015B10
	v_mul_f32_e32 v152, v14, v152                              // 000000004BE0: 0B31310E
	v_mul_f32_e32 v153, v14, v153                              // 000000004BE4: 0B33330E
	v_mul_f32_e32 v154, v14, v154                              // 000000004BE8: 0B35350E
	v_mul_f32_e32 v155, v14, v155                              // 000000004BEC: 0B37370E
	v_mul_f32_dpp v152, v16, v152 row_newbcast:12 row_mask:0xf bank_mask:0xf// 000000004BF0: 0B3130FA FF015C10
	v_mul_f32_dpp v153, v16, v153 row_newbcast:13 row_mask:0xf bank_mask:0xf// 000000004BF8: 0B3332FA FF015D10
	v_mul_f32_dpp v154, v16, v154 row_newbcast:14 row_mask:0xf bank_mask:0xf// 000000004C00: 0B3534FA FF015E10
	v_mul_f32_dpp v155, v16, v155 row_newbcast:15 row_mask:0xf bank_mask:0xf// 000000004C08: 0B3736FA FF015F10
	v_mul_f32_e32 v156, v15, v156                              // 000000004C10: 0B39390F
	v_mul_f32_e32 v157, v15, v157                              // 000000004C14: 0B3B3B0F
	v_mul_f32_e32 v158, v15, v158                              // 000000004C18: 0B3D3D0F
	v_mul_f32_e32 v159, v15, v159                              // 000000004C1C: 0B3F3F0F
	v_mul_f32_dpp v156, v16, v156 row_newbcast:12 row_mask:0xf bank_mask:0xf// 000000004C20: 0B3938FA FF015C10
	v_mul_f32_dpp v157, v16, v157 row_newbcast:13 row_mask:0xf bank_mask:0xf// 000000004C28: 0B3B3AFA FF015D10
	v_mul_f32_dpp v158, v16, v158 row_newbcast:14 row_mask:0xf bank_mask:0xf// 000000004C30: 0B3D3CFA FF015E10
	v_mul_f32_dpp v159, v16, v159 row_newbcast:15 row_mask:0xf bank_mask:0xf// 000000004C38: 0B3F3EFA FF015F10
	v_mul_f32_e32 v160, v14, v160                              // 000000004C40: 0B41410E
	v_mul_f32_e32 v161, v14, v161                              // 000000004C44: 0B43430E
	v_mul_f32_e32 v162, v14, v162                              // 000000004C48: 0B45450E
	v_mul_f32_e32 v163, v14, v163                              // 000000004C4C: 0B47470E
	v_mul_f32_dpp v160, v17, v160 row_newbcast:0 row_mask:0xf bank_mask:0xf// 000000004C50: 0B4140FA FF015011
	v_mul_f32_dpp v161, v17, v161 row_newbcast:1 row_mask:0xf bank_mask:0xf// 000000004C58: 0B4342FA FF015111
	v_mul_f32_dpp v162, v17, v162 row_newbcast:2 row_mask:0xf bank_mask:0xf// 000000004C60: 0B4544FA FF015211
	v_mul_f32_dpp v163, v17, v163 row_newbcast:3 row_mask:0xf bank_mask:0xf// 000000004C68: 0B4746FA FF015311
	v_mul_f32_e32 v164, v15, v164                              // 000000004C70: 0B49490F
	v_mul_f32_e32 v165, v15, v165                              // 000000004C74: 0B4B4B0F
	v_mul_f32_e32 v166, v15, v166                              // 000000004C78: 0B4D4D0F
	v_mul_f32_e32 v167, v15, v167                              // 000000004C7C: 0B4F4F0F
	v_mul_f32_dpp v164, v17, v164 row_newbcast:0 row_mask:0xf bank_mask:0xf// 000000004C80: 0B4948FA FF015011
	v_mul_f32_dpp v165, v17, v165 row_newbcast:1 row_mask:0xf bank_mask:0xf// 000000004C88: 0B4B4AFA FF015111
	v_mul_f32_dpp v166, v17, v166 row_newbcast:2 row_mask:0xf bank_mask:0xf// 000000004C90: 0B4D4CFA FF015211
	v_mul_f32_dpp v167, v17, v167 row_newbcast:3 row_mask:0xf bank_mask:0xf// 000000004C98: 0B4F4EFA FF015311
	v_mul_f32_e32 v168, v14, v168                              // 000000004CA0: 0B51510E
	v_mul_f32_e32 v169, v14, v169                              // 000000004CA4: 0B53530E
	v_mul_f32_e32 v170, v14, v170                              // 000000004CA8: 0B55550E
	v_mul_f32_e32 v171, v14, v171                              // 000000004CAC: 0B57570E
	v_mul_f32_dpp v168, v17, v168 row_newbcast:4 row_mask:0xf bank_mask:0xf// 000000004CB0: 0B5150FA FF015411
	v_mul_f32_dpp v169, v17, v169 row_newbcast:5 row_mask:0xf bank_mask:0xf// 000000004CB8: 0B5352FA FF015511
	v_mul_f32_dpp v170, v17, v170 row_newbcast:6 row_mask:0xf bank_mask:0xf// 000000004CC0: 0B5554FA FF015611
	v_mul_f32_dpp v171, v17, v171 row_newbcast:7 row_mask:0xf bank_mask:0xf// 000000004CC8: 0B5756FA FF015711
	v_mul_f32_e32 v172, v15, v172                              // 000000004CD0: 0B59590F
	v_mul_f32_e32 v173, v15, v173                              // 000000004CD4: 0B5B5B0F
	v_mul_f32_e32 v174, v15, v174                              // 000000004CD8: 0B5D5D0F
	v_mul_f32_e32 v175, v15, v175                              // 000000004CDC: 0B5F5F0F
	v_mul_f32_dpp v172, v17, v172 row_newbcast:4 row_mask:0xf bank_mask:0xf// 000000004CE0: 0B5958FA FF015411
	v_mul_f32_dpp v173, v17, v173 row_newbcast:5 row_mask:0xf bank_mask:0xf// 000000004CE8: 0B5B5AFA FF015511
	v_mul_f32_dpp v174, v17, v174 row_newbcast:6 row_mask:0xf bank_mask:0xf// 000000004CF0: 0B5D5CFA FF015611
	v_mul_f32_dpp v175, v17, v175 row_newbcast:7 row_mask:0xf bank_mask:0xf// 000000004CF8: 0B5F5EFA FF015711
	v_mul_f32_e32 v64, v14, v64                                // 000000004D00: 0A80810E
	v_mul_f32_e32 v65, v14, v65                                // 000000004D04: 0A82830E
	v_mul_f32_e32 v66, v14, v66                                // 000000004D08: 0A84850E
	v_mul_f32_e32 v67, v14, v67                                // 000000004D0C: 0A86870E
	v_mul_f32_dpp v64, v48, v64 row_newbcast:0 row_mask:0xf bank_mask:0xf// 000000004D10: 0A8080FA FF015030
	v_mul_f32_dpp v65, v48, v65 row_newbcast:1 row_mask:0xf bank_mask:0xf// 000000004D18: 0A8282FA FF015130
	v_mul_f32_dpp v66, v48, v66 row_newbcast:2 row_mask:0xf bank_mask:0xf// 000000004D20: 0A8484FA FF015230
	v_mul_f32_dpp v67, v48, v67 row_newbcast:3 row_mask:0xf bank_mask:0xf// 000000004D28: 0A8686FA FF015330
	v_mul_f32_e32 v68, v15, v68                                // 000000004D30: 0A88890F
	v_mul_f32_e32 v69, v15, v69                                // 000000004D34: 0A8A8B0F
	v_mul_f32_e32 v70, v15, v70                                // 000000004D38: 0A8C8D0F
	v_mul_f32_e32 v71, v15, v71                                // 000000004D3C: 0A8E8F0F
	v_mul_f32_dpp v68, v48, v68 row_newbcast:0 row_mask:0xf bank_mask:0xf// 000000004D40: 0A8888FA FF015030
	v_mul_f32_dpp v69, v48, v69 row_newbcast:1 row_mask:0xf bank_mask:0xf// 000000004D48: 0A8A8AFA FF015130
	v_mul_f32_dpp v70, v48, v70 row_newbcast:2 row_mask:0xf bank_mask:0xf// 000000004D50: 0A8C8CFA FF015230
	v_mul_f32_dpp v71, v48, v71 row_newbcast:3 row_mask:0xf bank_mask:0xf// 000000004D58: 0A8E8EFA FF015330
	v_mul_f32_e32 v72, v14, v72                                // 000000004D60: 0A90910E
	v_mul_f32_e32 v73, v14, v73                                // 000000004D64: 0A92930E
	v_mul_f32_e32 v74, v14, v74                                // 000000004D68: 0A94950E
	v_mul_f32_e32 v75, v14, v75                                // 000000004D6C: 0A96970E
	v_mul_f32_dpp v72, v48, v72 row_newbcast:4 row_mask:0xf bank_mask:0xf// 000000004D70: 0A9090FA FF015430
	v_mul_f32_dpp v73, v48, v73 row_newbcast:5 row_mask:0xf bank_mask:0xf// 000000004D78: 0A9292FA FF015530
	v_mul_f32_dpp v74, v48, v74 row_newbcast:6 row_mask:0xf bank_mask:0xf// 000000004D80: 0A9494FA FF015630
	v_mul_f32_dpp v75, v48, v75 row_newbcast:7 row_mask:0xf bank_mask:0xf// 000000004D88: 0A9696FA FF015730
	v_mul_f32_e32 v76, v15, v76                                // 000000004D90: 0A98990F
	v_mul_f32_e32 v77, v15, v77                                // 000000004D94: 0A9A9B0F
	v_mul_f32_e32 v78, v15, v78                                // 000000004D98: 0A9C9D0F
	v_mul_f32_e32 v79, v15, v79                                // 000000004D9C: 0A9E9F0F
	v_mul_f32_dpp v76, v48, v76 row_newbcast:4 row_mask:0xf bank_mask:0xf// 000000004DA0: 0A9898FA FF015430
	v_mul_f32_dpp v77, v48, v77 row_newbcast:5 row_mask:0xf bank_mask:0xf// 000000004DA8: 0A9A9AFA FF015530
	v_mul_f32_dpp v78, v48, v78 row_newbcast:6 row_mask:0xf bank_mask:0xf// 000000004DB0: 0A9C9CFA FF015630
	v_mul_f32_dpp v79, v48, v79 row_newbcast:7 row_mask:0xf bank_mask:0xf// 000000004DB8: 0A9E9EFA FF015730
	v_mul_f32_e32 v80, v14, v80                                // 000000004DC0: 0AA0A10E
	v_mul_f32_e32 v81, v14, v81                                // 000000004DC4: 0AA2A30E
	v_mul_f32_e32 v82, v14, v82                                // 000000004DC8: 0AA4A50E
	v_mul_f32_e32 v83, v14, v83                                // 000000004DCC: 0AA6A70E
	v_mul_f32_dpp v80, v48, v80 row_newbcast:8 row_mask:0xf bank_mask:0xf// 000000004DD0: 0AA0A0FA FF015830
	v_mul_f32_dpp v81, v48, v81 row_newbcast:9 row_mask:0xf bank_mask:0xf// 000000004DD8: 0AA2A2FA FF015930
	v_mul_f32_dpp v82, v48, v82 row_newbcast:10 row_mask:0xf bank_mask:0xf// 000000004DE0: 0AA4A4FA FF015A30
	v_mul_f32_dpp v83, v48, v83 row_newbcast:11 row_mask:0xf bank_mask:0xf// 000000004DE8: 0AA6A6FA FF015B30
	v_mul_f32_e32 v84, v15, v84                                // 000000004DF0: 0AA8A90F
	v_mul_f32_e32 v85, v15, v85                                // 000000004DF4: 0AAAAB0F
	v_mul_f32_e32 v86, v15, v86                                // 000000004DF8: 0AACAD0F
	v_mul_f32_e32 v87, v15, v87                                // 000000004DFC: 0AAEAF0F
	v_mul_f32_dpp v84, v48, v84 row_newbcast:8 row_mask:0xf bank_mask:0xf// 000000004E00: 0AA8A8FA FF015830
	v_mul_f32_dpp v85, v48, v85 row_newbcast:9 row_mask:0xf bank_mask:0xf// 000000004E08: 0AAAAAFA FF015930
	v_mul_f32_dpp v86, v48, v86 row_newbcast:10 row_mask:0xf bank_mask:0xf// 000000004E10: 0AACACFA FF015A30
	v_mul_f32_dpp v87, v48, v87 row_newbcast:11 row_mask:0xf bank_mask:0xf// 000000004E18: 0AAEAEFA FF015B30
	v_mul_f32_e32 v88, v14, v88                                // 000000004E20: 0AB0B10E
	v_mul_f32_e32 v89, v14, v89                                // 000000004E24: 0AB2B30E
	v_mul_f32_e32 v90, v14, v90                                // 000000004E28: 0AB4B50E
	v_mul_f32_e32 v91, v14, v91                                // 000000004E2C: 0AB6B70E
	v_mul_f32_dpp v88, v48, v88 row_newbcast:12 row_mask:0xf bank_mask:0xf// 000000004E30: 0AB0B0FA FF015C30
	v_mul_f32_dpp v89, v48, v89 row_newbcast:13 row_mask:0xf bank_mask:0xf// 000000004E38: 0AB2B2FA FF015D30
	v_mul_f32_dpp v90, v48, v90 row_newbcast:14 row_mask:0xf bank_mask:0xf// 000000004E40: 0AB4B4FA FF015E30
	v_mul_f32_dpp v91, v48, v91 row_newbcast:15 row_mask:0xf bank_mask:0xf// 000000004E48: 0AB6B6FA FF015F30
	v_mul_f32_e32 v92, v15, v92                                // 000000004E50: 0AB8B90F
	v_mul_f32_e32 v93, v15, v93                                // 000000004E54: 0ABABB0F
	v_mul_f32_e32 v94, v15, v94                                // 000000004E58: 0ABCBD0F
	v_mul_f32_e32 v95, v15, v95                                // 000000004E5C: 0ABEBF0F
	v_mul_f32_dpp v92, v48, v92 row_newbcast:12 row_mask:0xf bank_mask:0xf// 000000004E60: 0AB8B8FA FF015C30
	v_mul_f32_dpp v93, v48, v93 row_newbcast:13 row_mask:0xf bank_mask:0xf// 000000004E68: 0ABABAFA FF015D30
	v_mul_f32_dpp v94, v48, v94 row_newbcast:14 row_mask:0xf bank_mask:0xf// 000000004E70: 0ABCBCFA FF015E30
	v_mul_f32_dpp v95, v48, v95 row_newbcast:15 row_mask:0xf bank_mask:0xf// 000000004E78: 0ABEBEFA FF015F30
	v_mul_f32_e32 v96, v14, v96                                // 000000004E80: 0AC0C10E
	v_mul_f32_e32 v97, v14, v97                                // 000000004E84: 0AC2C30E
	v_mul_f32_e32 v98, v14, v98                                // 000000004E88: 0AC4C50E
	v_mul_f32_e32 v99, v14, v99                                // 000000004E8C: 0AC6C70E
	v_mul_f32_dpp v96, v49, v96 row_newbcast:0 row_mask:0xf bank_mask:0xf// 000000004E90: 0AC0C0FA FF015031
	v_mul_f32_dpp v97, v49, v97 row_newbcast:1 row_mask:0xf bank_mask:0xf// 000000004E98: 0AC2C2FA FF015131
	v_mul_f32_dpp v98, v49, v98 row_newbcast:2 row_mask:0xf bank_mask:0xf// 000000004EA0: 0AC4C4FA FF015231
	v_mul_f32_dpp v99, v49, v99 row_newbcast:3 row_mask:0xf bank_mask:0xf// 000000004EA8: 0AC6C6FA FF015331
	v_mul_f32_e32 v100, v15, v100                              // 000000004EB0: 0AC8C90F
	v_mul_f32_e32 v101, v15, v101                              // 000000004EB4: 0ACACB0F
	v_mul_f32_e32 v102, v15, v102                              // 000000004EB8: 0ACCCD0F
	v_mul_f32_e32 v103, v15, v103                              // 000000004EBC: 0ACECF0F
	v_mul_f32_dpp v100, v49, v100 row_newbcast:0 row_mask:0xf bank_mask:0xf// 000000004EC0: 0AC8C8FA FF015031
	v_mul_f32_dpp v101, v49, v101 row_newbcast:1 row_mask:0xf bank_mask:0xf// 000000004EC8: 0ACACAFA FF015131
	v_mul_f32_dpp v102, v49, v102 row_newbcast:2 row_mask:0xf bank_mask:0xf// 000000004ED0: 0ACCCCFA FF015231
	v_mul_f32_dpp v103, v49, v103 row_newbcast:3 row_mask:0xf bank_mask:0xf// 000000004ED8: 0ACECEFA FF015331
	v_mul_f32_e32 v104, v14, v104                              // 000000004EE0: 0AD0D10E
	v_mul_f32_e32 v105, v14, v105                              // 000000004EE4: 0AD2D30E
	v_mul_f32_e32 v106, v14, v106                              // 000000004EE8: 0AD4D50E
	v_mul_f32_e32 v107, v14, v107                              // 000000004EEC: 0AD6D70E
	v_mul_f32_dpp v104, v49, v104 row_newbcast:4 row_mask:0xf bank_mask:0xf// 000000004EF0: 0AD0D0FA FF015431
	v_mul_f32_dpp v105, v49, v105 row_newbcast:5 row_mask:0xf bank_mask:0xf// 000000004EF8: 0AD2D2FA FF015531
	v_mul_f32_dpp v106, v49, v106 row_newbcast:6 row_mask:0xf bank_mask:0xf// 000000004F00: 0AD4D4FA FF015631
	v_mul_f32_dpp v107, v49, v107 row_newbcast:7 row_mask:0xf bank_mask:0xf// 000000004F08: 0AD6D6FA FF015731
	v_mul_f32_e32 v108, v15, v108                              // 000000004F10: 0AD8D90F
	v_mul_f32_e32 v109, v15, v109                              // 000000004F14: 0ADADB0F
	v_mul_f32_e32 v110, v15, v110                              // 000000004F18: 0ADCDD0F
	v_mul_f32_e32 v111, v15, v111                              // 000000004F1C: 0ADEDF0F
	v_mul_f32_dpp v108, v49, v108 row_newbcast:4 row_mask:0xf bank_mask:0xf// 000000004F20: 0AD8D8FA FF015431
	v_mul_f32_dpp v109, v49, v109 row_newbcast:5 row_mask:0xf bank_mask:0xf// 000000004F28: 0ADADAFA FF015531
	v_mul_f32_dpp v110, v49, v110 row_newbcast:6 row_mask:0xf bank_mask:0xf// 000000004F30: 0ADCDCFA FF015631
	v_mul_f32_dpp v111, v49, v111 row_newbcast:7 row_mask:0xf bank_mask:0xf// 000000004F38: 0ADEDEFA FF015731
	s_waitcnt vmcnt(20)                                        // 000000004F40: BF8C4F74
	buffer_load_dwordx4 a[0:3], v40, s[12:15], 0 offen         // 000000004F44: E05C1000 80830028
	v_mul_f32_e64 v50, -v128, s6                               // 000000004F4C: D1050032 20000D80
	v_mul_f32_e64 v51, -v129, s6                               // 000000004F54: D1050033 20000D81
	v_mul_f32_e64 v52, -v130, s6                               // 000000004F5C: D1050034 20000D82
	v_mul_f32_e64 v53, -v131, s6                               // 000000004F64: D1050035 20000D83
	v_exp_f32_e32 v50, v50                                     // 000000004F6C: 7E644132
	v_exp_f32_e32 v51, v51                                     // 000000004F70: 7E664133
	v_exp_f32_e32 v52, v52                                     // 000000004F74: 7E684134
	v_exp_f32_e32 v53, v53                                     // 000000004F78: 7E6A4135
	buffer_load_dwordx4 a[4:7], v41, s[12:15], 0 offen         // 000000004F7C: E05C1000 80830429
	v_add_f32_e64 v50, v50, 1.0                                // 000000004F84: D1010032 0001E532
	v_add_f32_e64 v51, v51, 1.0                                // 000000004F8C: D1010033 0001E533
	v_add_f32_e64 v52, v52, 1.0                                // 000000004F94: D1010034 0001E534
	v_add_f32_e64 v53, v53, 1.0                                // 000000004F9C: D1010035 0001E535
	v_rcp_f32_e32 v50, v50                                     // 000000004FA4: 7E644532
	v_rcp_f32_e32 v51, v51                                     // 000000004FA8: 7E664533
	v_rcp_f32_e32 v52, v52                                     // 000000004FAC: 7E684534
	v_rcp_f32_e32 v53, v53                                     // 000000004FB0: 7E6A4535
	v_mul_f32_e32 v128, v128, v50                              // 000000004FB4: 0B006580
	v_mul_f32_e32 v129, v129, v51                              // 000000004FB8: 0B026781
	v_mul_f32_e32 v130, v130, v52                              // 000000004FBC: 0B046982
	v_mul_f32_e32 v131, v131, v53                              // 000000004FC0: 0B066B83
	v_mul_f32_e32 v128, v128, v64                              // 000000004FC4: 0B008180
	v_mul_f32_e32 v129, v129, v65                              // 000000004FC8: 0B028381
	v_mul_f32_e32 v130, v130, v66                              // 000000004FCC: 0B048582
	v_mul_f32_e32 v131, v131, v67                              // 000000004FD0: 0B068783
	buffer_load_dwordx4 a[8:11], v42, s[12:15], 0 offen        // 000000004FD4: E05C1000 8083082A
	v_mul_f32_e64 v50, -v132, s6                               // 000000004FDC: D1050032 20000D84
	v_mul_f32_e64 v51, -v133, s6                               // 000000004FE4: D1050033 20000D85
	v_mul_f32_e64 v52, -v134, s6                               // 000000004FEC: D1050034 20000D86
	v_mul_f32_e64 v53, -v135, s6                               // 000000004FF4: D1050035 20000D87
	v_exp_f32_e32 v50, v50                                     // 000000004FFC: 7E644132
	v_exp_f32_e32 v51, v51                                     // 000000005000: 7E664133
	v_exp_f32_e32 v52, v52                                     // 000000005004: 7E684134
	v_exp_f32_e32 v53, v53                                     // 000000005008: 7E6A4135
	buffer_load_dwordx4 a[12:15], v43, s[12:15], 0 offen       // 00000000500C: E05C1000 80830C2B
	s_add_u32 s12, s78, s12                                    // 000000005014: 800C0C4E
	s_addc_u32 s13, 0, s13                                     // 000000005018: 820D0D80
	v_add_f32_e64 v50, v50, 1.0                                // 00000000501C: D1010032 0001E532
	v_add_f32_e64 v51, v51, 1.0                                // 000000005024: D1010033 0001E533
	v_add_f32_e64 v52, v52, 1.0                                // 00000000502C: D1010034 0001E534
	v_add_f32_e64 v53, v53, 1.0                                // 000000005034: D1010035 0001E535
	v_rcp_f32_e32 v50, v50                                     // 00000000503C: 7E644532
	v_rcp_f32_e32 v51, v51                                     // 000000005040: 7E664533
	v_rcp_f32_e32 v52, v52                                     // 000000005044: 7E684534
	v_rcp_f32_e32 v53, v53                                     // 000000005048: 7E6A4535
	v_mul_f32_e32 v132, v132, v50                              // 00000000504C: 0B086584
	v_mul_f32_e32 v133, v133, v51                              // 000000005050: 0B0A6785
	v_mul_f32_e32 v134, v134, v52                              // 000000005054: 0B0C6986
	v_mul_f32_e32 v135, v135, v53                              // 000000005058: 0B0E6B87
	v_mul_f32_e32 v132, v132, v68                              // 00000000505C: 0B088984
	v_mul_f32_e32 v133, v133, v69                              // 000000005060: 0B0A8B85
	v_mul_f32_e32 v134, v134, v70                              // 000000005064: 0B0C8D86
	v_mul_f32_e32 v135, v135, v71                              // 000000005068: 0B0E8F87
	s_waitcnt vmcnt(20)                                        // 00000000506C: BF8C4F74
	buffer_load_dwordx4 a[16:19], v40, s[12:15], 0 offen       // 000000005070: E05C1000 80831028
	v_mul_f32_e64 v50, -v136, s6                               // 000000005078: D1050032 20000D88
	v_mul_f32_e64 v51, -v137, s6                               // 000000005080: D1050033 20000D89
	v_mul_f32_e64 v52, -v138, s6                               // 000000005088: D1050034 20000D8A
	v_mul_f32_e64 v53, -v139, s6                               // 000000005090: D1050035 20000D8B
	v_exp_f32_e32 v50, v50                                     // 000000005098: 7E644132
	v_exp_f32_e32 v51, v51                                     // 00000000509C: 7E664133
	v_exp_f32_e32 v52, v52                                     // 0000000050A0: 7E684134
	v_exp_f32_e32 v53, v53                                     // 0000000050A4: 7E6A4135
	buffer_load_dwordx4 a[20:23], v41, s[12:15], 0 offen       // 0000000050A8: E05C1000 80831429
	v_add_f32_e64 v50, v50, 1.0                                // 0000000050B0: D1010032 0001E532
	v_add_f32_e64 v51, v51, 1.0                                // 0000000050B8: D1010033 0001E533
	v_add_f32_e64 v52, v52, 1.0                                // 0000000050C0: D1010034 0001E534
	v_add_f32_e64 v53, v53, 1.0                                // 0000000050C8: D1010035 0001E535
	v_rcp_f32_e32 v50, v50                                     // 0000000050D0: 7E644532
	v_rcp_f32_e32 v51, v51                                     // 0000000050D4: 7E664533
	v_rcp_f32_e32 v52, v52                                     // 0000000050D8: 7E684534
	v_rcp_f32_e32 v53, v53                                     // 0000000050DC: 7E6A4535
	v_mul_f32_e32 v136, v136, v50                              // 0000000050E0: 0B106588
	v_mul_f32_e32 v137, v137, v51                              // 0000000050E4: 0B126789
	v_mul_f32_e32 v138, v138, v52                              // 0000000050E8: 0B14698A
	v_mul_f32_e32 v139, v139, v53                              // 0000000050EC: 0B166B8B
	v_mul_f32_e32 v136, v136, v72                              // 0000000050F0: 0B109188
	v_mul_f32_e32 v137, v137, v73                              // 0000000050F4: 0B129389
	v_mul_f32_e32 v138, v138, v74                              // 0000000050F8: 0B14958A
	v_mul_f32_e32 v139, v139, v75                              // 0000000050FC: 0B16978B
	buffer_load_dwordx4 a[24:27], v42, s[12:15], 0 offen       // 000000005100: E05C1000 8083182A
	v_mul_f32_e64 v50, -v140, s6                               // 000000005108: D1050032 20000D8C
	v_mul_f32_e64 v51, -v141, s6                               // 000000005110: D1050033 20000D8D
	v_mul_f32_e64 v52, -v142, s6                               // 000000005118: D1050034 20000D8E
	v_mul_f32_e64 v53, -v143, s6                               // 000000005120: D1050035 20000D8F
	v_exp_f32_e32 v50, v50                                     // 000000005128: 7E644132
	v_exp_f32_e32 v51, v51                                     // 00000000512C: 7E664133
	v_exp_f32_e32 v52, v52                                     // 000000005130: 7E684134
	v_exp_f32_e32 v53, v53                                     // 000000005134: 7E6A4135
	buffer_load_dwordx4 a[28:31], v43, s[12:15], 0 offen       // 000000005138: E05C1000 80831C2B
	s_add_u32 s12, s78, s12                                    // 000000005140: 800C0C4E
	s_addc_u32 s13, 0, s13                                     // 000000005144: 820D0D80
	v_add_f32_e64 v50, v50, 1.0                                // 000000005148: D1010032 0001E532
	v_add_f32_e64 v51, v51, 1.0                                // 000000005150: D1010033 0001E533
	v_add_f32_e64 v52, v52, 1.0                                // 000000005158: D1010034 0001E534
	v_add_f32_e64 v53, v53, 1.0                                // 000000005160: D1010035 0001E535
	v_rcp_f32_e32 v50, v50                                     // 000000005168: 7E644532
	v_rcp_f32_e32 v51, v51                                     // 00000000516C: 7E664533
	v_rcp_f32_e32 v52, v52                                     // 000000005170: 7E684534
	v_rcp_f32_e32 v53, v53                                     // 000000005174: 7E6A4535
	v_mul_f32_e32 v140, v140, v50                              // 000000005178: 0B18658C
	v_mul_f32_e32 v141, v141, v51                              // 00000000517C: 0B1A678D
	v_mul_f32_e32 v142, v142, v52                              // 000000005180: 0B1C698E
	v_mul_f32_e32 v143, v143, v53                              // 000000005184: 0B1E6B8F
	v_mul_f32_e32 v140, v140, v76                              // 000000005188: 0B18998C
	v_mul_f32_e32 v141, v141, v77                              // 00000000518C: 0B1A9B8D
	v_mul_f32_e32 v142, v142, v78                              // 000000005190: 0B1C9D8E
	v_mul_f32_e32 v143, v143, v79                              // 000000005194: 0B1E9F8F
	s_waitcnt vmcnt(20)                                        // 000000005198: BF8C4F74
	buffer_load_dwordx4 a[32:35], v40, s[12:15], 0 offen       // 00000000519C: E05C1000 80832028
	v_mul_f32_e64 v50, -v144, s6                               // 0000000051A4: D1050032 20000D90
	v_mul_f32_e64 v51, -v145, s6                               // 0000000051AC: D1050033 20000D91
	v_mul_f32_e64 v52, -v146, s6                               // 0000000051B4: D1050034 20000D92
	v_mul_f32_e64 v53, -v147, s6                               // 0000000051BC: D1050035 20000D93
	v_exp_f32_e32 v50, v50                                     // 0000000051C4: 7E644132
	v_exp_f32_e32 v51, v51                                     // 0000000051C8: 7E664133
	v_exp_f32_e32 v52, v52                                     // 0000000051CC: 7E684134
	v_exp_f32_e32 v53, v53                                     // 0000000051D0: 7E6A4135
	buffer_load_dwordx4 a[36:39], v41, s[12:15], 0 offen       // 0000000051D4: E05C1000 80832429
	v_add_f32_e64 v50, v50, 1.0                                // 0000000051DC: D1010032 0001E532
	v_add_f32_e64 v51, v51, 1.0                                // 0000000051E4: D1010033 0001E533
	v_add_f32_e64 v52, v52, 1.0                                // 0000000051EC: D1010034 0001E534
	v_add_f32_e64 v53, v53, 1.0                                // 0000000051F4: D1010035 0001E535
	v_rcp_f32_e32 v50, v50                                     // 0000000051FC: 7E644532
	v_rcp_f32_e32 v51, v51                                     // 000000005200: 7E664533
	v_rcp_f32_e32 v52, v52                                     // 000000005204: 7E684534
	v_rcp_f32_e32 v53, v53                                     // 000000005208: 7E6A4535
	v_mul_f32_e32 v144, v144, v50                              // 00000000520C: 0B206590
	v_mul_f32_e32 v145, v145, v51                              // 000000005210: 0B226791
	v_mul_f32_e32 v146, v146, v52                              // 000000005214: 0B246992
	v_mul_f32_e32 v147, v147, v53                              // 000000005218: 0B266B93
	v_mul_f32_e32 v144, v144, v80                              // 00000000521C: 0B20A190
	v_mul_f32_e32 v145, v145, v81                              // 000000005220: 0B22A391
	v_mul_f32_e32 v146, v146, v82                              // 000000005224: 0B24A592
	v_mul_f32_e32 v147, v147, v83                              // 000000005228: 0B26A793
	buffer_load_dwordx4 a[40:43], v42, s[12:15], 0 offen       // 00000000522C: E05C1000 8083282A
	v_mul_f32_e64 v50, -v148, s6                               // 000000005234: D1050032 20000D94
	v_mul_f32_e64 v51, -v149, s6                               // 00000000523C: D1050033 20000D95
	v_mul_f32_e64 v52, -v150, s6                               // 000000005244: D1050034 20000D96
	v_mul_f32_e64 v53, -v151, s6                               // 00000000524C: D1050035 20000D97
	v_exp_f32_e32 v50, v50                                     // 000000005254: 7E644132
	v_exp_f32_e32 v51, v51                                     // 000000005258: 7E664133
	v_exp_f32_e32 v52, v52                                     // 00000000525C: 7E684134
	v_exp_f32_e32 v53, v53                                     // 000000005260: 7E6A4135
	buffer_load_dwordx4 a[44:47], v43, s[12:15], 0 offen       // 000000005264: E05C1000 80832C2B
	s_add_u32 s12, s78, s12                                    // 00000000526C: 800C0C4E
	s_addc_u32 s13, 0, s13                                     // 000000005270: 820D0D80
	v_add_f32_e64 v50, v50, 1.0                                // 000000005274: D1010032 0001E532
	v_add_f32_e64 v51, v51, 1.0                                // 00000000527C: D1010033 0001E533
	v_add_f32_e64 v52, v52, 1.0                                // 000000005284: D1010034 0001E534
	v_add_f32_e64 v53, v53, 1.0                                // 00000000528C: D1010035 0001E535
	v_rcp_f32_e32 v50, v50                                     // 000000005294: 7E644532
	v_rcp_f32_e32 v51, v51                                     // 000000005298: 7E664533
	v_rcp_f32_e32 v52, v52                                     // 00000000529C: 7E684534
	v_rcp_f32_e32 v53, v53                                     // 0000000052A0: 7E6A4535
	v_mul_f32_e32 v148, v148, v50                              // 0000000052A4: 0B286594
	v_mul_f32_e32 v149, v149, v51                              // 0000000052A8: 0B2A6795
	v_mul_f32_e32 v150, v150, v52                              // 0000000052AC: 0B2C6996
	v_mul_f32_e32 v151, v151, v53                              // 0000000052B0: 0B2E6B97
	v_mul_f32_e32 v148, v148, v84                              // 0000000052B4: 0B28A994
	v_mul_f32_e32 v149, v149, v85                              // 0000000052B8: 0B2AAB95
	v_mul_f32_e32 v150, v150, v86                              // 0000000052BC: 0B2CAD96
	v_mul_f32_e32 v151, v151, v87                              // 0000000052C0: 0B2EAF97
	s_waitcnt vmcnt(20)                                        // 0000000052C4: BF8C4F74
	buffer_load_dwordx4 a[48:51], v40, s[12:15], 0 offen       // 0000000052C8: E05C1000 80833028
	v_mul_f32_e64 v50, -v152, s6                               // 0000000052D0: D1050032 20000D98
	v_mul_f32_e64 v51, -v153, s6                               // 0000000052D8: D1050033 20000D99
	v_mul_f32_e64 v52, -v154, s6                               // 0000000052E0: D1050034 20000D9A
	v_mul_f32_e64 v53, -v155, s6                               // 0000000052E8: D1050035 20000D9B
	v_exp_f32_e32 v50, v50                                     // 0000000052F0: 7E644132
	v_exp_f32_e32 v51, v51                                     // 0000000052F4: 7E664133
	v_exp_f32_e32 v52, v52                                     // 0000000052F8: 7E684134
	v_exp_f32_e32 v53, v53                                     // 0000000052FC: 7E6A4135
	buffer_load_dwordx4 a[52:55], v41, s[12:15], 0 offen       // 000000005300: E05C1000 80833429
	v_add_f32_e64 v50, v50, 1.0                                // 000000005308: D1010032 0001E532
	v_add_f32_e64 v51, v51, 1.0                                // 000000005310: D1010033 0001E533
	v_add_f32_e64 v52, v52, 1.0                                // 000000005318: D1010034 0001E534
	v_add_f32_e64 v53, v53, 1.0                                // 000000005320: D1010035 0001E535
	v_rcp_f32_e32 v50, v50                                     // 000000005328: 7E644532
	v_rcp_f32_e32 v51, v51                                     // 00000000532C: 7E664533
	v_rcp_f32_e32 v52, v52                                     // 000000005330: 7E684534
	v_rcp_f32_e32 v53, v53                                     // 000000005334: 7E6A4535
	v_mul_f32_e32 v152, v152, v50                              // 000000005338: 0B306598
	v_mul_f32_e32 v153, v153, v51                              // 00000000533C: 0B326799
	v_mul_f32_e32 v154, v154, v52                              // 000000005340: 0B34699A
	v_mul_f32_e32 v155, v155, v53                              // 000000005344: 0B366B9B
	v_mul_f32_e32 v152, v152, v88                              // 000000005348: 0B30B198
	v_mul_f32_e32 v153, v153, v89                              // 00000000534C: 0B32B399
	v_mul_f32_e32 v154, v154, v90                              // 000000005350: 0B34B59A
	v_mul_f32_e32 v155, v155, v91                              // 000000005354: 0B36B79B
	buffer_load_dwordx4 a[56:59], v42, s[12:15], 0 offen       // 000000005358: E05C1000 8083382A
	v_mul_f32_e64 v50, -v156, s6                               // 000000005360: D1050032 20000D9C
	v_mul_f32_e64 v51, -v157, s6                               // 000000005368: D1050033 20000D9D
	v_mul_f32_e64 v52, -v158, s6                               // 000000005370: D1050034 20000D9E
	v_mul_f32_e64 v53, -v159, s6                               // 000000005378: D1050035 20000D9F
	v_exp_f32_e32 v50, v50                                     // 000000005380: 7E644132
	v_exp_f32_e32 v51, v51                                     // 000000005384: 7E664133
	v_exp_f32_e32 v52, v52                                     // 000000005388: 7E684134
	v_exp_f32_e32 v53, v53                                     // 00000000538C: 7E6A4135
	buffer_load_dwordx4 a[60:63], v43, s[12:15], 0 offen       // 000000005390: E05C1000 80833C2B
	s_add_u32 s12, s78, s12                                    // 000000005398: 800C0C4E
	s_addc_u32 s13, 0, s13                                     // 00000000539C: 820D0D80
	v_add_f32_e64 v50, v50, 1.0                                // 0000000053A0: D1010032 0001E532
	v_add_f32_e64 v51, v51, 1.0                                // 0000000053A8: D1010033 0001E533
	v_add_f32_e64 v52, v52, 1.0                                // 0000000053B0: D1010034 0001E534
	v_add_f32_e64 v53, v53, 1.0                                // 0000000053B8: D1010035 0001E535
	v_rcp_f32_e32 v50, v50                                     // 0000000053C0: 7E644532
	v_rcp_f32_e32 v51, v51                                     // 0000000053C4: 7E664533
	v_rcp_f32_e32 v52, v52                                     // 0000000053C8: 7E684534
	v_rcp_f32_e32 v53, v53                                     // 0000000053CC: 7E6A4535
	v_mul_f32_e32 v156, v156, v50                              // 0000000053D0: 0B38659C
	v_mul_f32_e32 v157, v157, v51                              // 0000000053D4: 0B3A679D
	v_mul_f32_e32 v158, v158, v52                              // 0000000053D8: 0B3C699E
	v_mul_f32_e32 v159, v159, v53                              // 0000000053DC: 0B3E6B9F
	v_mul_f32_e32 v156, v156, v92                              // 0000000053E0: 0B38B99C
	v_mul_f32_e32 v157, v157, v93                              // 0000000053E4: 0B3ABB9D
	v_mul_f32_e32 v158, v158, v94                              // 0000000053E8: 0B3CBD9E
	v_mul_f32_e32 v159, v159, v95                              // 0000000053EC: 0B3EBF9F
	s_waitcnt vmcnt(20)                                        // 0000000053F0: BF8C4F74
	buffer_load_dwordx4 a[64:67], v40, s[12:15], 0 offen       // 0000000053F4: E05C1000 80834028
	v_mul_f32_e64 v50, -v160, s6                               // 0000000053FC: D1050032 20000DA0
	v_mul_f32_e64 v51, -v161, s6                               // 000000005404: D1050033 20000DA1
	v_mul_f32_e64 v52, -v162, s6                               // 00000000540C: D1050034 20000DA2
	v_mul_f32_e64 v53, -v163, s6                               // 000000005414: D1050035 20000DA3
	v_exp_f32_e32 v50, v50                                     // 00000000541C: 7E644132
	v_exp_f32_e32 v51, v51                                     // 000000005420: 7E664133
	v_exp_f32_e32 v52, v52                                     // 000000005424: 7E684134
	v_exp_f32_e32 v53, v53                                     // 000000005428: 7E6A4135
	buffer_load_dwordx4 a[68:71], v41, s[12:15], 0 offen       // 00000000542C: E05C1000 80834429
	v_add_f32_e64 v50, v50, 1.0                                // 000000005434: D1010032 0001E532
	v_add_f32_e64 v51, v51, 1.0                                // 00000000543C: D1010033 0001E533
	v_add_f32_e64 v52, v52, 1.0                                // 000000005444: D1010034 0001E534
	v_add_f32_e64 v53, v53, 1.0                                // 00000000544C: D1010035 0001E535
	v_rcp_f32_e32 v50, v50                                     // 000000005454: 7E644532
	v_rcp_f32_e32 v51, v51                                     // 000000005458: 7E664533
	v_rcp_f32_e32 v52, v52                                     // 00000000545C: 7E684534
	v_rcp_f32_e32 v53, v53                                     // 000000005460: 7E6A4535
	v_mul_f32_e32 v160, v160, v50                              // 000000005464: 0B4065A0
	v_mul_f32_e32 v161, v161, v51                              // 000000005468: 0B4267A1
	v_mul_f32_e32 v162, v162, v52                              // 00000000546C: 0B4469A2
	v_mul_f32_e32 v163, v163, v53                              // 000000005470: 0B466BA3
	v_mul_f32_e32 v160, v160, v96                              // 000000005474: 0B40C1A0
	v_mul_f32_e32 v161, v161, v97                              // 000000005478: 0B42C3A1
	v_mul_f32_e32 v162, v162, v98                              // 00000000547C: 0B44C5A2
	v_mul_f32_e32 v163, v163, v99                              // 000000005480: 0B46C7A3
	buffer_load_dwordx4 a[72:75], v42, s[12:15], 0 offen       // 000000005484: E05C1000 8083482A
	v_mul_f32_e64 v50, -v164, s6                               // 00000000548C: D1050032 20000DA4
	v_mul_f32_e64 v51, -v165, s6                               // 000000005494: D1050033 20000DA5
	v_mul_f32_e64 v52, -v166, s6                               // 00000000549C: D1050034 20000DA6
	v_mul_f32_e64 v53, -v167, s6                               // 0000000054A4: D1050035 20000DA7
	v_exp_f32_e32 v50, v50                                     // 0000000054AC: 7E644132
	v_exp_f32_e32 v51, v51                                     // 0000000054B0: 7E664133
	v_exp_f32_e32 v52, v52                                     // 0000000054B4: 7E684134
	v_exp_f32_e32 v53, v53                                     // 0000000054B8: 7E6A4135
	buffer_load_dwordx4 a[76:79], v43, s[12:15], 0 offen       // 0000000054BC: E05C1000 80834C2B
	s_add_u32 s12, s78, s12                                    // 0000000054C4: 800C0C4E
	s_addc_u32 s13, 0, s13                                     // 0000000054C8: 820D0D80
	v_add_f32_e64 v50, v50, 1.0                                // 0000000054CC: D1010032 0001E532
	v_add_f32_e64 v51, v51, 1.0                                // 0000000054D4: D1010033 0001E533
	v_add_f32_e64 v52, v52, 1.0                                // 0000000054DC: D1010034 0001E534
	v_add_f32_e64 v53, v53, 1.0                                // 0000000054E4: D1010035 0001E535
	v_rcp_f32_e32 v50, v50                                     // 0000000054EC: 7E644532
	v_rcp_f32_e32 v51, v51                                     // 0000000054F0: 7E664533
	v_rcp_f32_e32 v52, v52                                     // 0000000054F4: 7E684534
	v_rcp_f32_e32 v53, v53                                     // 0000000054F8: 7E6A4535
	v_mul_f32_e32 v164, v164, v50                              // 0000000054FC: 0B4865A4
	v_mul_f32_e32 v165, v165, v51                              // 000000005500: 0B4A67A5
	v_mul_f32_e32 v166, v166, v52                              // 000000005504: 0B4C69A6
	v_mul_f32_e32 v167, v167, v53                              // 000000005508: 0B4E6BA7
	v_mul_f32_e32 v164, v164, v100                             // 00000000550C: 0B48C9A4
	v_mul_f32_e32 v165, v165, v101                             // 000000005510: 0B4ACBA5
	v_mul_f32_e32 v166, v166, v102                             // 000000005514: 0B4CCDA6
	v_mul_f32_e32 v167, v167, v103                             // 000000005518: 0B4ECFA7
	s_waitcnt vmcnt(20)                                        // 00000000551C: BF8C4F74
	buffer_load_dwordx4 a[80:83], v40, s[12:15], 0 offen       // 000000005520: E05C1000 80835028
	v_mul_f32_e64 v50, -v168, s6                               // 000000005528: D1050032 20000DA8
	v_mul_f32_e64 v51, -v169, s6                               // 000000005530: D1050033 20000DA9
	v_mul_f32_e64 v52, -v170, s6                               // 000000005538: D1050034 20000DAA
	v_mul_f32_e64 v53, -v171, s6                               // 000000005540: D1050035 20000DAB
	v_exp_f32_e32 v50, v50                                     // 000000005548: 7E644132
	v_exp_f32_e32 v51, v51                                     // 00000000554C: 7E664133
	v_exp_f32_e32 v52, v52                                     // 000000005550: 7E684134
	v_exp_f32_e32 v53, v53                                     // 000000005554: 7E6A4135
	buffer_load_dwordx4 a[84:87], v41, s[12:15], 0 offen       // 000000005558: E05C1000 80835429
	v_add_f32_e64 v50, v50, 1.0                                // 000000005560: D1010032 0001E532
	v_add_f32_e64 v51, v51, 1.0                                // 000000005568: D1010033 0001E533
	v_add_f32_e64 v52, v52, 1.0                                // 000000005570: D1010034 0001E534
	v_add_f32_e64 v53, v53, 1.0                                // 000000005578: D1010035 0001E535
	v_rcp_f32_e32 v50, v50                                     // 000000005580: 7E644532
	v_rcp_f32_e32 v51, v51                                     // 000000005584: 7E664533
	v_rcp_f32_e32 v52, v52                                     // 000000005588: 7E684534
	v_rcp_f32_e32 v53, v53                                     // 00000000558C: 7E6A4535
	v_mul_f32_e32 v168, v168, v50                              // 000000005590: 0B5065A8
	v_mul_f32_e32 v169, v169, v51                              // 000000005594: 0B5267A9
	v_mul_f32_e32 v170, v170, v52                              // 000000005598: 0B5469AA
	v_mul_f32_e32 v171, v171, v53                              // 00000000559C: 0B566BAB
	v_mul_f32_e32 v168, v168, v104                             // 0000000055A0: 0B50D1A8
	v_mul_f32_e32 v169, v169, v105                             // 0000000055A4: 0B52D3A9
	v_mul_f32_e32 v170, v170, v106                             // 0000000055A8: 0B54D5AA
	v_mul_f32_e32 v171, v171, v107                             // 0000000055AC: 0B56D7AB
	buffer_load_dwordx4 a[88:91], v42, s[12:15], 0 offen       // 0000000055B0: E05C1000 8083582A
	v_mul_f32_e64 v50, -v172, s6                               // 0000000055B8: D1050032 20000DAC
	v_mul_f32_e64 v51, -v173, s6                               // 0000000055C0: D1050033 20000DAD
	v_mul_f32_e64 v52, -v174, s6                               // 0000000055C8: D1050034 20000DAE
	v_mul_f32_e64 v53, -v175, s6                               // 0000000055D0: D1050035 20000DAF
	v_exp_f32_e32 v50, v50                                     // 0000000055D8: 7E644132
	v_exp_f32_e32 v51, v51                                     // 0000000055DC: 7E664133
	v_exp_f32_e32 v52, v52                                     // 0000000055E0: 7E684134
	v_exp_f32_e32 v53, v53                                     // 0000000055E4: 7E6A4135
	buffer_load_dwordx4 a[92:95], v43, s[12:15], 0 offen       // 0000000055E8: E05C1000 80835C2B
	v_add_f32_e64 v50, v50, 1.0                                // 0000000055F0: D1010032 0001E532
	v_add_f32_e64 v51, v51, 1.0                                // 0000000055F8: D1010033 0001E533
	v_add_f32_e64 v52, v52, 1.0                                // 000000005600: D1010034 0001E534
	v_add_f32_e64 v53, v53, 1.0                                // 000000005608: D1010035 0001E535
	v_rcp_f32_e32 v50, v50                                     // 000000005610: 7E644532
	v_rcp_f32_e32 v51, v51                                     // 000000005614: 7E664533
	v_rcp_f32_e32 v52, v52                                     // 000000005618: 7E684534
	v_rcp_f32_e32 v53, v53                                     // 00000000561C: 7E6A4535
	v_mul_f32_e32 v172, v172, v50                              // 000000005620: 0B5865AC
	v_mul_f32_e32 v173, v173, v51                              // 000000005624: 0B5A67AD
	v_mul_f32_e32 v174, v174, v52                              // 000000005628: 0B5C69AE
	v_mul_f32_e32 v175, v175, v53                              // 00000000562C: 0B5E6BAF
	v_mul_f32_e32 v172, v172, v108                             // 000000005630: 0B58D9AC
	v_mul_f32_e32 v173, v173, v109                             // 000000005634: 0B5ADBAD
	v_mul_f32_e32 v174, v174, v110                             // 000000005638: 0B5CDDAE
	v_mul_f32_e32 v175, v175, v111                             // 00000000563C: 0B5EDFAF
	v_lshlrev_b32_e32 v50, 2, v0                               // 000000005640: 24640082
	s_mul_i32 s60, s82, s71                                    // 000000005644: 923C4752
	v_add_u32_e64 v80, v50, s60                                // 000000005648: D1340050 00007932
	v_mov_b32_e32 v81, 0                                       // 000000005650: 7EA20280
	s_mul_i32 s60, s83, s71                                    // 000000005654: 923C4753
	v_add_u32_e64 v82, v50, s60                                // 000000005658: D1340052 00007932
	v_mov_b32_e32 v83, 0                                       // 000000005660: 7EA60280
	s_mul_i32 s60, s84, s71                                    // 000000005664: 923C4754
	v_add_u32_e64 v84, v50, s60                                // 000000005668: D1340054 00007932
	v_mov_b32_e32 v85, 0                                       // 000000005670: 7EAA0280
	s_mul_i32 s60, s85, s71                                    // 000000005674: 923C4755
	v_add_u32_e64 v86, v50, s60                                // 000000005678: D1340056 00007932
	v_mov_b32_e32 v87, 0                                       // 000000005680: 7EAE0280
	s_mul_i32 s60, s86, s71                                    // 000000005684: 923C4756
	v_add_u32_e64 v88, v50, s60                                // 000000005688: D1340058 00007932
	v_mov_b32_e32 v89, 0                                       // 000000005690: 7EB20280
	s_mul_i32 s60, s87, s71                                    // 000000005694: 923C4757
	v_add_u32_e64 v90, v50, s60                                // 000000005698: D134005A 00007932
	v_mov_b32_e32 v91, 0                                       // 0000000056A0: 7EB60280
	s_mul_i32 s60, s88, s71                                    // 0000000056A4: 923C4758
	v_add_u32_e64 v92, v50, s60                                // 0000000056A8: D134005C 00007932
	v_mov_b32_e32 v93, 0                                       // 0000000056B0: 7EBA0280
	s_mul_i32 s60, s89, s71                                    // 0000000056B4: 923C4759
	v_add_u32_e64 v94, v50, s60                                // 0000000056B8: D134005E 00007932
	v_mov_b32_e32 v95, 0                                       // 0000000056C0: 7EBE0280
	buffer_load_dword v12, v5, s[16:19], 0 offen               // 0000000056C4: E0501000 80040C05
	v_mov_b32_e32 v22, 0x358637bd                              // 0000000056CC: 7E2C02FF 358637BD
	v_mov_b32_e32 v23, 0x358637bd                              // 0000000056D4: 7E2E02FF 358637BD
	v_max3_f32 v22, |v128|, |v129|, v22                        // 0000000056DC: D1D30316 045B0380
	v_max3_f32 v22, |v130|, |v131|, v22                        // 0000000056E4: D1D30316 045B0782
	v_max3_f32 v23, |v132|, |v133|, v23                        // 0000000056EC: D1D30317 045F0B84
	v_max3_f32 v23, |v134|, |v135|, v23                        // 0000000056F4: D1D30317 045F0F86
	v_max3_f32 v22, |v136|, |v137|, v22                        // 0000000056FC: D1D30316 045B1388
	v_max3_f32 v22, |v138|, |v139|, v22                        // 000000005704: D1D30316 045B178A
	v_max3_f32 v23, |v140|, |v141|, v23                        // 00000000570C: D1D30317 045F1B8C
	v_max3_f32 v23, |v142|, |v143|, v23                        // 000000005714: D1D30317 045F1F8E
	v_max3_f32 v22, |v144|, |v145|, v22                        // 00000000571C: D1D30316 045B2390
	v_max3_f32 v22, |v146|, |v147|, v22                        // 000000005724: D1D30316 045B2792
	v_max3_f32 v23, |v148|, |v149|, v23                        // 00000000572C: D1D30317 045F2B94
	v_max3_f32 v23, |v150|, |v151|, v23                        // 000000005734: D1D30317 045F2F96
	v_max3_f32 v22, |v152|, |v153|, v22                        // 00000000573C: D1D30316 045B3398
	v_max3_f32 v22, |v154|, |v155|, v22                        // 000000005744: D1D30316 045B379A
	v_max3_f32 v23, |v156|, |v157|, v23                        // 00000000574C: D1D30317 045F3B9C
	v_max3_f32 v23, |v158|, |v159|, v23                        // 000000005754: D1D30317 045F3F9E
	v_max3_f32 v22, |v160|, |v161|, v22                        // 00000000575C: D1D30316 045B43A0
	v_max3_f32 v22, |v162|, |v163|, v22                        // 000000005764: D1D30316 045B47A2
	v_max3_f32 v23, |v164|, |v165|, v23                        // 00000000576C: D1D30317 045F4BA4
	v_max3_f32 v23, |v166|, |v167|, v23                        // 000000005774: D1D30317 045F4FA6
	v_max3_f32 v22, |v168|, |v169|, v22                        // 00000000577C: D1D30316 045B53A8
	v_max3_f32 v22, |v170|, |v171|, v22                        // 000000005784: D1D30316 045B57AA
	v_max3_f32 v23, |v172|, |v173|, v23                        // 00000000578C: D1D30317 045F5BAC
	v_max3_f32 v23, |v174|, |v175|, v23                        // 000000005794: D1D30317 045F5FAE
	v_lshlrev_b32_e32 v50, 3, v0                               // 00000000579C: 24640083
	s_mul_i32 s60, 0x200, s7                                   // 0000000057A0: 923C07FF 00000200
	v_add_u32_e32 v50, s60, v50                                // 0000000057A8: 6864643C
	ds_write_b64 v50, v[22:23] offset:16640                    // 0000000057AC: D89A4100 00001632
	s_waitcnt lgkmcnt(0)                                       // 0000000057B4: BF8CC07F
	s_barrier                                                  // 0000000057B8: BF8A0000
	v_and_b32_e32 v50, 15, v0                                  // 0000000057BC: 2664008F
	v_lshlrev_b32_e32 v50, 3, v50                              // 0000000057C0: 24646483
	ds_read_b64 v[96:97], v50 offset:16640                     // 0000000057C4: D8EC4100 60000032
	ds_read_b64 v[98:99], v50 offset:16768                     // 0000000057CC: D8EC4180 62000032
	ds_read_b64 v[100:101], v50 offset:16896                   // 0000000057D4: D8EC4200 64000032
	ds_read_b64 v[102:103], v50 offset:17024                   // 0000000057DC: D8EC4280 66000032
	ds_read_b64 v[104:105], v50 offset:17152                   // 0000000057E4: D8EC4300 68000032
	ds_read_b64 v[106:107], v50 offset:17280                   // 0000000057EC: D8EC4380 6A000032
	ds_read_b64 v[108:109], v50 offset:17408                   // 0000000057F4: D8EC4400 6C000032
	ds_read_b64 v[110:111], v50 offset:17536                   // 0000000057FC: D8EC4480 6E000032
	ds_read_b64 v[112:113], v50 offset:17664                   // 000000005804: D8EC4500 70000032
	ds_read_b64 v[114:115], v50 offset:17792                   // 00000000580C: D8EC4580 72000032
	ds_read_b64 v[116:117], v50 offset:17920                   // 000000005814: D8EC4600 74000032
	ds_read_b64 v[118:119], v50 offset:18048                   // 00000000581C: D8EC4680 76000032
	ds_read_b64 v[120:121], v50 offset:18176                   // 000000005824: D8EC4700 78000032
	ds_read_b64 v[122:123], v50 offset:18304                   // 00000000582C: D8EC4780 7A000032
	ds_read_b64 v[124:125], v50 offset:18432                   // 000000005834: D8EC4800 7C000032
	ds_read_b64 v[126:127], v50 offset:18560                   // 00000000583C: D8EC4880 7E000032
	s_waitcnt lgkmcnt(0)                                       // 000000005844: BF8CC07F
	v_max3_f32 v22, |v96|, |v98|, v22                          // 000000005848: D1D30316 045AC560
	v_max3_f32 v23, |v97|, |v99|, v23                          // 000000005850: D1D30317 045EC761
	v_max3_f32 v22, |v100|, |v102|, v22                        // 000000005858: D1D30316 045ACD64
	v_max3_f32 v23, |v101|, |v103|, v23                        // 000000005860: D1D30317 045ECF65
	v_max3_f32 v22, |v104|, |v106|, v22                        // 000000005868: D1D30316 045AD568
	v_max3_f32 v23, |v105|, |v107|, v23                        // 000000005870: D1D30317 045ED769
	v_max3_f32 v22, |v108|, |v110|, v22                        // 000000005878: D1D30316 045ADD6C
	v_max3_f32 v23, |v109|, |v111|, v23                        // 000000005880: D1D30317 045EDF6D
	v_max3_f32 v22, |v112|, |v114|, v22                        // 000000005888: D1D30316 045AE570
	v_max3_f32 v23, |v113|, |v115|, v23                        // 000000005890: D1D30317 045EE771
	v_max3_f32 v22, |v116|, |v118|, v22                        // 000000005898: D1D30316 045AED74
	v_max3_f32 v23, |v117|, |v119|, v23                        // 0000000058A0: D1D30317 045EEF75
	v_max3_f32 v22, |v120|, |v122|, v22                        // 0000000058A8: D1D30316 045AF578
	v_max3_f32 v23, |v121|, |v123|, v23                        // 0000000058B0: D1D30317 045EF779
	v_max3_f32 v22, |v124|, |v126|, v22                        // 0000000058B8: D1D30316 045AFD7C
	v_max3_f32 v23, |v125|, |v127|, v23                        // 0000000058C0: D1D30317 045EFF7D
	v_rcp_f32_e32 v22, v22                                     // 0000000058C8: 7E2C4516
	v_rcp_f32_e32 v23, v23                                     // 0000000058CC: 7E2E4517
	v_mov_b32_e32 v50, 0x43e00000                              // 0000000058D0: 7E6402FF 43E00000
	v_mul_f32_e32 v22, v50, v22                                // 0000000058D8: 0A2C2D32
	v_mul_f32_e32 v23, v50, v23                                // 0000000058DC: 0A2E2F32
	v_mul_f32_e32 v128, v22, v128                              // 0000000058E0: 0B010116
	v_mul_f32_e32 v129, v22, v129                              // 0000000058E4: 0B030316
	v_mul_f32_e32 v130, v22, v130                              // 0000000058E8: 0B050516
	v_mul_f32_e32 v131, v22, v131                              // 0000000058EC: 0B070716
	v_cvt_pk_fp8_f32 v128, v128, v129                          // 0000000058F0: D2A20080 00030380
	v_cvt_pk_fp8_f32 v128, v130, v131 op_sel:[0,0,1]           // 0000000058F8: D2A24080 00030782
	v_mul_f32_e32 v132, v23, v132                              // 000000005900: 0B090917
	v_mul_f32_e32 v133, v23, v133                              // 000000005904: 0B0B0B17
	v_mul_f32_e32 v134, v23, v134                              // 000000005908: 0B0D0D17
	v_mul_f32_e32 v135, v23, v135                              // 00000000590C: 0B0F0F17
	v_cvt_pk_fp8_f32 v129, v132, v133                          // 000000005910: D2A20081 00030B84
	v_cvt_pk_fp8_f32 v129, v134, v135 op_sel:[0,0,1]           // 000000005918: D2A24081 00030F86
	v_mul_f32_e32 v136, v22, v136                              // 000000005920: 0B111116
	v_mul_f32_e32 v137, v22, v137                              // 000000005924: 0B131316
	v_mul_f32_e32 v138, v22, v138                              // 000000005928: 0B151516
	v_mul_f32_e32 v139, v22, v139                              // 00000000592C: 0B171716
	v_cvt_pk_fp8_f32 v130, v136, v137                          // 000000005930: D2A20082 00031388
	v_cvt_pk_fp8_f32 v130, v138, v139 op_sel:[0,0,1]           // 000000005938: D2A24082 0003178A
	v_mul_f32_e32 v140, v23, v140                              // 000000005940: 0B191917
	v_mul_f32_e32 v141, v23, v141                              // 000000005944: 0B1B1B17
	v_mul_f32_e32 v142, v23, v142                              // 000000005948: 0B1D1D17
	v_mul_f32_e32 v143, v23, v143                              // 00000000594C: 0B1F1F17
	v_cvt_pk_fp8_f32 v131, v140, v141                          // 000000005950: D2A20083 00031B8C
	v_cvt_pk_fp8_f32 v131, v142, v143 op_sel:[0,0,1]           // 000000005958: D2A24083 00031F8E
	v_mul_f32_e32 v144, v22, v144                              // 000000005960: 0B212116
	v_mul_f32_e32 v145, v22, v145                              // 000000005964: 0B232316
	v_mul_f32_e32 v146, v22, v146                              // 000000005968: 0B252516
	v_mul_f32_e32 v147, v22, v147                              // 00000000596C: 0B272716
	v_cvt_pk_fp8_f32 v132, v144, v145                          // 000000005970: D2A20084 00032390
	v_cvt_pk_fp8_f32 v132, v146, v147 op_sel:[0,0,1]           // 000000005978: D2A24084 00032792
	v_mul_f32_e32 v148, v23, v148                              // 000000005980: 0B292917
	v_mul_f32_e32 v149, v23, v149                              // 000000005984: 0B2B2B17
	v_mul_f32_e32 v150, v23, v150                              // 000000005988: 0B2D2D17
	v_mul_f32_e32 v151, v23, v151                              // 00000000598C: 0B2F2F17
	v_cvt_pk_fp8_f32 v133, v148, v149                          // 000000005990: D2A20085 00032B94
	v_cvt_pk_fp8_f32 v133, v150, v151 op_sel:[0,0,1]           // 000000005998: D2A24085 00032F96
	v_mul_f32_e32 v152, v22, v152                              // 0000000059A0: 0B313116
	v_mul_f32_e32 v153, v22, v153                              // 0000000059A4: 0B333316
	v_mul_f32_e32 v154, v22, v154                              // 0000000059A8: 0B353516
	v_mul_f32_e32 v155, v22, v155                              // 0000000059AC: 0B373716
	v_cvt_pk_fp8_f32 v134, v152, v153                          // 0000000059B0: D2A20086 00033398
	v_cvt_pk_fp8_f32 v134, v154, v155 op_sel:[0,0,1]           // 0000000059B8: D2A24086 0003379A
	v_mul_f32_e32 v156, v23, v156                              // 0000000059C0: 0B393917
	v_mul_f32_e32 v157, v23, v157                              // 0000000059C4: 0B3B3B17
	v_mul_f32_e32 v158, v23, v158                              // 0000000059C8: 0B3D3D17
	v_mul_f32_e32 v159, v23, v159                              // 0000000059CC: 0B3F3F17
	v_cvt_pk_fp8_f32 v135, v156, v157                          // 0000000059D0: D2A20087 00033B9C
	v_cvt_pk_fp8_f32 v135, v158, v159 op_sel:[0,0,1]           // 0000000059D8: D2A24087 00033F9E
	v_mul_f32_e32 v160, v22, v160                              // 0000000059E0: 0B414116
	v_mul_f32_e32 v161, v22, v161                              // 0000000059E4: 0B434316
	v_mul_f32_e32 v162, v22, v162                              // 0000000059E8: 0B454516
	v_mul_f32_e32 v163, v22, v163                              // 0000000059EC: 0B474716
	v_cvt_pk_fp8_f32 v136, v160, v161                          // 0000000059F0: D2A20088 000343A0
	v_cvt_pk_fp8_f32 v136, v162, v163 op_sel:[0,0,1]           // 0000000059F8: D2A24088 000347A2
	v_mul_f32_e32 v164, v23, v164                              // 000000005A00: 0B494917
	v_mul_f32_e32 v165, v23, v165                              // 000000005A04: 0B4B4B17
	v_mul_f32_e32 v166, v23, v166                              // 000000005A08: 0B4D4D17
	v_mul_f32_e32 v167, v23, v167                              // 000000005A0C: 0B4F4F17
	v_cvt_pk_fp8_f32 v137, v164, v165                          // 000000005A10: D2A20089 00034BA4
	v_cvt_pk_fp8_f32 v137, v166, v167 op_sel:[0,0,1]           // 000000005A18: D2A24089 00034FA6
	v_mul_f32_e32 v168, v22, v168                              // 000000005A20: 0B515116
	v_mul_f32_e32 v169, v22, v169                              // 000000005A24: 0B535316
	v_mul_f32_e32 v170, v22, v170                              // 000000005A28: 0B555516
	v_mul_f32_e32 v171, v22, v171                              // 000000005A2C: 0B575716
	v_cvt_pk_fp8_f32 v138, v168, v169                          // 000000005A30: D2A2008A 000353A8
	v_cvt_pk_fp8_f32 v138, v170, v171 op_sel:[0,0,1]           // 000000005A38: D2A2408A 000357AA
	v_mul_f32_e32 v172, v23, v172                              // 000000005A40: 0B595917
	v_mul_f32_e32 v173, v23, v173                              // 000000005A44: 0B5B5B17
	v_mul_f32_e32 v174, v23, v174                              // 000000005A48: 0B5D5D17
	v_mul_f32_e32 v175, v23, v175                              // 000000005A4C: 0B5F5F17
	v_cvt_pk_fp8_f32 v139, v172, v173                          // 000000005A50: D2A2008B 00035BAC
	v_cvt_pk_fp8_f32 v139, v174, v175 op_sel:[0,0,1]           // 000000005A58: D2A2408B 00035FAE
	v_rcp_f32_e32 v24, v22                                     // 000000005A60: 7E304516
	v_rcp_f32_e32 v25, v23                                     // 000000005A64: 7E324517
	v_lshrrev_b32_e32 v50, 5, v0                               // 000000005A68: 20640085
	v_lshlrev_b32_e32 v51, 5, v50                              // 000000005A6C: 24666485
	v_and_b32_e32 v50, 31, v0                                  // 000000005A70: 2664009F
	v_lshrrev_b32_e32 v52, 4, v50                              // 000000005A74: 20686484
	v_add_u32_e32 v51, v52, v51                                // 000000005A78: 68666734
	v_and_b32_e32 v50, 15, v0                                  // 000000005A7C: 2664008F
	v_lshlrev_b32_e32 v50, 1, v50                              // 000000005A80: 24646481
	v_add_u32_e32 v51, v50, v51                                // 000000005A84: 68666732
	v_lshlrev_b32_e32 v50, 2, v51                              // 000000005A88: 24646682
	s_mul_i32 s60, 0x100, s7                                   // 000000005A8C: 923C07FF 00000100
	v_add_u32_e64 v50, v50, s60                                // 000000005A94: D1340032 00007932
	ds_write_b32 v50, v128 offset:18688                        // 000000005A9C: D81A4900 00008032
	ds_write_b32 v50, v129 offset:24832                        // 000000005AA4: D81A6100 00008132
	ds_write_b32 v50, v130 offset:19712                        // 000000005AAC: D81A4D00 00008232
	ds_write_b32 v50, v131 offset:25856                        // 000000005AB4: D81A6500 00008332
	ds_write_b32 v50, v132 offset:20736                        // 000000005ABC: D81A5100 00008432
	ds_write_b32 v50, v133 offset:26880                        // 000000005AC4: D81A6900 00008532
	ds_write_b32 v50, v134 offset:21760                        // 000000005ACC: D81A5500 00008632
	ds_write_b32 v50, v135 offset:27904                        // 000000005AD4: D81A6D00 00008732
	ds_write_b32 v50, v136 offset:22784                        // 000000005ADC: D81A5900 00008832
	ds_write_b32 v50, v137 offset:28928                        // 000000005AE4: D81A7100 00008932
	ds_write_b32 v50, v138 offset:23808                        // 000000005AEC: D81A5D00 00008A32
	ds_write_b32 v50, v139 offset:29952                        // 000000005AF4: D81A7500 00008B32
	s_waitcnt lgkmcnt(0)                                       // 000000005AFC: BF8CC07F
	s_barrier                                                  // 000000005B00: BF8A0000
	v_lshrrev_b32_e32 v50, 4, v0                               // 000000005B04: 20640084
	v_lshlrev_b32_e32 v51, 6, v50                              // 000000005B08: 24666486
	v_and_b32_e32 v50, 15, v0                                  // 000000005B0C: 2664008F
	v_lshlrev_b32_e32 v50, 1, v50                              // 000000005B10: 24646481
	v_add_u32_e32 v51, v50, v51                                // 000000005B14: 68666732
	v_lshlrev_b32_e32 v50, 2, v51                              // 000000005B18: 24646682
	ds_read_b64 v[128:129], v50 offset:18688                   // 000000005B1C: D8EC4900 80000032
	ds_read_b64 v[130:131], v50 offset:18816                   // 000000005B24: D8EC4980 82000032
	ds_read_b64 v[132:133], v50 offset:19712                   // 000000005B2C: D8EC4D00 84000032
	ds_read_b64 v[134:135], v50 offset:19840                   // 000000005B34: D8EC4D80 86000032
	ds_read_b64 v[136:137], v50 offset:20736                   // 000000005B3C: D8EC5100 88000032
	ds_read_b64 v[138:139], v50 offset:20864                   // 000000005B44: D8EC5180 8A000032
	ds_read_b64 v[140:141], v50 offset:21760                   // 000000005B4C: D8EC5500 8C000032
	ds_read_b64 v[142:143], v50 offset:21888                   // 000000005B54: D8EC5580 8E000032
	ds_read_b64 v[144:145], v50 offset:22784                   // 000000005B5C: D8EC5900 90000032
	ds_read_b64 v[146:147], v50 offset:22912                   // 000000005B64: D8EC5980 92000032
	ds_read_b64 v[148:149], v50 offset:23808                   // 000000005B6C: D8EC5D00 94000032
	ds_read_b64 v[150:151], v50 offset:23936                   // 000000005B74: D8EC5D80 96000032
	ds_read_b64 v[152:153], v50 offset:24832                   // 000000005B7C: D8EC6100 98000032
	ds_read_b64 v[154:155], v50 offset:24960                   // 000000005B84: D8EC6180 9A000032
	ds_read_b64 v[156:157], v50 offset:25856                   // 000000005B8C: D8EC6500 9C000032
	ds_read_b64 v[158:159], v50 offset:25984                   // 000000005B94: D8EC6580 9E000032
	ds_read_b64 v[160:161], v50 offset:26880                   // 000000005B9C: D8EC6900 A0000032
	ds_read_b64 v[162:163], v50 offset:27008                   // 000000005BA4: D8EC6980 A2000032
	ds_read_b64 v[164:165], v50 offset:27904                   // 000000005BAC: D8EC6D00 A4000032
	ds_read_b64 v[166:167], v50 offset:28032                   // 000000005BB4: D8EC6D80 A6000032
	ds_read_b64 v[168:169], v50 offset:28928                   // 000000005BBC: D8EC7100 A8000032
	ds_read_b64 v[170:171], v50 offset:29056                   // 000000005BC4: D8EC7180 AA000032
	ds_read_b64 v[172:173], v50 offset:29952                   // 000000005BCC: D8EC7500 AC000032
	ds_read_b64 v[174:175], v50 offset:30080                   // 000000005BD4: D8EC7580 AE000032
	s_add_u32 s12, s56, s12                                    // 000000005BDC: 800C0C38
	s_addc_u32 s13, 0, s13                                     // 000000005BE0: 820D0D80
	s_add_u32 s16, s79, s16                                    // 000000005BE4: 8010104F
	s_addc_u32 s17, 0, s17                                     // 000000005BE8: 82111180
	s_mov_b32 s80, 0                                           // 000000005BEC: BED00080
	s_waitcnt vmcnt(0) expcnt(0) lgkmcnt(0)                    // 000000005BF0: BF8C0000

0000000000005bf4 <label_0B7D>:
	s_waitcnt vmcnt(37)                                        // 000000005BF4: BF8C8F75
	s_barrier                                                  // 000000005BF8: BF8A0000
	v_mfma_f32_16x16x32_fp8_fp8 v[176:179], a[0:1], v[128:129], 0// 000000005BFC: D3F300B0 0A030100
	v_mfma_f32_16x16x32_fp8_fp8 v[176:179], a[2:3], v[130:131], v[176:179]// 000000005C04: D3F300B0 0EC30502
	buffer_load_dwordx4 a[96:99], v40, s[12:15], 0 offen       // 000000005C0C: E05C1000 80836028
	v_mfma_f32_16x16x32_fp8_fp8 v[180:183], a[0:1], v[152:153], 0// 000000005C14: D3F300B4 0A033100
	v_mfma_f32_16x16x32_fp8_fp8 v[180:183], a[2:3], v[154:155], v[180:183]// 000000005C1C: D3F300B4 0ED33502
	v_mfma_f32_16x16x32_fp8_fp8 v[184:187], a[4:5], v[128:129], 0// 000000005C24: D3F300B8 0A030104
	v_mfma_f32_16x16x32_fp8_fp8 v[184:187], a[6:7], v[130:131], v[184:187]// 000000005C2C: D3F300B8 0EE30506
	buffer_load_dwordx4 a[100:103], v41, s[12:15], 0 offen     // 000000005C34: E05C1000 80836429
	v_mfma_f32_16x16x32_fp8_fp8 v[188:191], a[4:5], v[152:153], 0// 000000005C3C: D3F300BC 0A033104
	v_mfma_f32_16x16x32_fp8_fp8 v[188:191], a[6:7], v[154:155], v[188:191]// 000000005C44: D3F300BC 0EF33506
	v_mfma_f32_16x16x32_fp8_fp8 v[192:195], a[8:9], v[128:129], 0// 000000005C4C: D3F300C0 0A030108
	v_mfma_f32_16x16x32_fp8_fp8 v[192:195], a[10:11], v[130:131], v[192:195]// 000000005C54: D3F300C0 0F03050A
	buffer_load_dwordx4 a[104:107], v42, s[12:15], 0 offen     // 000000005C5C: E05C1000 8083682A
	v_mfma_f32_16x16x32_fp8_fp8 v[196:199], a[8:9], v[152:153], 0// 000000005C64: D3F300C4 0A033108
	v_mfma_f32_16x16x32_fp8_fp8 v[196:199], a[10:11], v[154:155], v[196:199]// 000000005C6C: D3F300C4 0F13350A
	v_mfma_f32_16x16x32_fp8_fp8 v[200:203], a[12:13], v[128:129], 0// 000000005C74: D3F300C8 0A03010C
	v_mfma_f32_16x16x32_fp8_fp8 v[200:203], a[14:15], v[130:131], v[200:203]// 000000005C7C: D3F300C8 0F23050E
	buffer_load_dwordx4 a[108:111], v43, s[12:15], 0 offen     // 000000005C84: E05C1000 80836C2B
	s_add_u32 s12, s78, s12                                    // 000000005C8C: 800C0C4E
	s_addc_u32 s13, 0, s13                                     // 000000005C90: 820D0D80
	v_mfma_f32_16x16x32_fp8_fp8 v[204:207], a[12:13], v[152:153], 0// 000000005C94: D3F300CC 0A03310C
	v_mfma_f32_16x16x32_fp8_fp8 v[204:207], a[14:15], v[154:155], v[204:207]// 000000005C9C: D3F300CC 0F33350E
	s_waitcnt vmcnt(37)                                        // 000000005CA4: BF8C8F75
	v_mfma_f32_16x16x32_fp8_fp8 v[176:179], a[16:17], v[132:133], v[176:179]// 000000005CA8: D3F300B0 0EC30910
	v_mfma_f32_16x16x32_fp8_fp8 v[176:179], a[18:19], v[134:135], v[176:179]// 000000005CB0: D3F300B0 0EC30D12
	buffer_load_dwordx4 a[112:115], v40, s[12:15], 0 offen     // 000000005CB8: E05C1000 80837028
	v_mfma_f32_16x16x32_fp8_fp8 v[180:183], a[16:17], v[156:157], v[180:183]// 000000005CC0: D3F300B4 0ED33910
	v_mfma_f32_16x16x32_fp8_fp8 v[180:183], a[18:19], v[158:159], v[180:183]// 000000005CC8: D3F300B4 0ED33D12
	v_mfma_f32_16x16x32_fp8_fp8 v[184:187], a[20:21], v[132:133], v[184:187]// 000000005CD0: D3F300B8 0EE30914
	v_mfma_f32_16x16x32_fp8_fp8 v[184:187], a[22:23], v[134:135], v[184:187]// 000000005CD8: D3F300B8 0EE30D16
	buffer_load_dwordx4 a[116:119], v41, s[12:15], 0 offen     // 000000005CE0: E05C1000 80837429
	v_mfma_f32_16x16x32_fp8_fp8 v[188:191], a[20:21], v[156:157], v[188:191]// 000000005CE8: D3F300BC 0EF33914
	v_mfma_f32_16x16x32_fp8_fp8 v[188:191], a[22:23], v[158:159], v[188:191]// 000000005CF0: D3F300BC 0EF33D16
	v_mfma_f32_16x16x32_fp8_fp8 v[192:195], a[24:25], v[132:133], v[192:195]// 000000005CF8: D3F300C0 0F030918
	v_mfma_f32_16x16x32_fp8_fp8 v[192:195], a[26:27], v[134:135], v[192:195]// 000000005D00: D3F300C0 0F030D1A
	buffer_load_dwordx4 a[120:123], v42, s[12:15], 0 offen     // 000000005D08: E05C1000 8083782A
	v_mfma_f32_16x16x32_fp8_fp8 v[196:199], a[24:25], v[156:157], v[196:199]// 000000005D10: D3F300C4 0F133918
	v_mfma_f32_16x16x32_fp8_fp8 v[196:199], a[26:27], v[158:159], v[196:199]// 000000005D18: D3F300C4 0F133D1A
	v_mfma_f32_16x16x32_fp8_fp8 v[200:203], a[28:29], v[132:133], v[200:203]// 000000005D20: D3F300C8 0F23091C
	v_mfma_f32_16x16x32_fp8_fp8 v[200:203], a[30:31], v[134:135], v[200:203]// 000000005D28: D3F300C8 0F230D1E
	buffer_load_dwordx4 a[124:127], v43, s[12:15], 0 offen     // 000000005D30: E05C1000 80837C2B
	s_add_u32 s12, s78, s12                                    // 000000005D38: 800C0C4E
	s_addc_u32 s13, 0, s13                                     // 000000005D3C: 820D0D80
	v_mfma_f32_16x16x32_fp8_fp8 v[204:207], a[28:29], v[156:157], v[204:207]// 000000005D40: D3F300CC 0F33391C
	v_mfma_f32_16x16x32_fp8_fp8 v[204:207], a[30:31], v[158:159], v[204:207]// 000000005D48: D3F300CC 0F333D1E
	s_waitcnt vmcnt(37)                                        // 000000005D50: BF8C8F75
	v_mfma_f32_16x16x32_fp8_fp8 v[176:179], a[32:33], v[136:137], v[176:179]// 000000005D54: D3F300B0 0EC31120
	v_mfma_f32_16x16x32_fp8_fp8 v[176:179], a[34:35], v[138:139], v[176:179]// 000000005D5C: D3F300B0 0EC31522
	buffer_load_dwordx4 a[128:131], v40, s[12:15], 0 offen     // 000000005D64: E05C1000 80838028
	v_mfma_f32_16x16x32_fp8_fp8 v[180:183], a[32:33], v[160:161], v[180:183]// 000000005D6C: D3F300B4 0ED34120
	v_mfma_f32_16x16x32_fp8_fp8 v[180:183], a[34:35], v[162:163], v[180:183]// 000000005D74: D3F300B4 0ED34522
	v_mfma_f32_16x16x32_fp8_fp8 v[184:187], a[36:37], v[136:137], v[184:187]// 000000005D7C: D3F300B8 0EE31124
	v_mfma_f32_16x16x32_fp8_fp8 v[184:187], a[38:39], v[138:139], v[184:187]// 000000005D84: D3F300B8 0EE31526
	buffer_load_dwordx4 a[132:135], v41, s[12:15], 0 offen     // 000000005D8C: E05C1000 80838429
	v_mfma_f32_16x16x32_fp8_fp8 v[188:191], a[36:37], v[160:161], v[188:191]// 000000005D94: D3F300BC 0EF34124
	v_mfma_f32_16x16x32_fp8_fp8 v[188:191], a[38:39], v[162:163], v[188:191]// 000000005D9C: D3F300BC 0EF34526
	v_mfma_f32_16x16x32_fp8_fp8 v[192:195], a[40:41], v[136:137], v[192:195]// 000000005DA4: D3F300C0 0F031128
	v_mfma_f32_16x16x32_fp8_fp8 v[192:195], a[42:43], v[138:139], v[192:195]// 000000005DAC: D3F300C0 0F03152A
	buffer_load_dwordx4 a[136:139], v42, s[12:15], 0 offen     // 000000005DB4: E05C1000 8083882A
	v_mfma_f32_16x16x32_fp8_fp8 v[196:199], a[40:41], v[160:161], v[196:199]// 000000005DBC: D3F300C4 0F134128
	v_mfma_f32_16x16x32_fp8_fp8 v[196:199], a[42:43], v[162:163], v[196:199]// 000000005DC4: D3F300C4 0F13452A
	v_mfma_f32_16x16x32_fp8_fp8 v[200:203], a[44:45], v[136:137], v[200:203]// 000000005DCC: D3F300C8 0F23112C
	v_mfma_f32_16x16x32_fp8_fp8 v[200:203], a[46:47], v[138:139], v[200:203]// 000000005DD4: D3F300C8 0F23152E
	buffer_load_dwordx4 a[140:143], v43, s[12:15], 0 offen     // 000000005DDC: E05C1000 80838C2B
	s_add_u32 s12, s78, s12                                    // 000000005DE4: 800C0C4E
	s_addc_u32 s13, 0, s13                                     // 000000005DE8: 820D0D80
	v_mfma_f32_16x16x32_fp8_fp8 v[204:207], a[44:45], v[160:161], v[204:207]// 000000005DEC: D3F300CC 0F33412C
	v_mfma_f32_16x16x32_fp8_fp8 v[204:207], a[46:47], v[162:163], v[204:207]// 000000005DF4: D3F300CC 0F33452E
	s_waitcnt vmcnt(37)                                        // 000000005DFC: BF8C8F75
	v_mfma_f32_16x16x32_fp8_fp8 v[176:179], a[48:49], v[140:141], v[176:179]// 000000005E00: D3F300B0 0EC31930
	v_mfma_f32_16x16x32_fp8_fp8 v[176:179], a[50:51], v[142:143], v[176:179]// 000000005E08: D3F300B0 0EC31D32
	buffer_load_dwordx4 a[144:147], v40, s[12:15], 0 offen     // 000000005E10: E05C1000 80839028
	v_mfma_f32_16x16x32_fp8_fp8 v[180:183], a[48:49], v[164:165], v[180:183]// 000000005E18: D3F300B4 0ED34930
	v_mfma_f32_16x16x32_fp8_fp8 v[180:183], a[50:51], v[166:167], v[180:183]// 000000005E20: D3F300B4 0ED34D32
	v_mfma_f32_16x16x32_fp8_fp8 v[184:187], a[52:53], v[140:141], v[184:187]// 000000005E28: D3F300B8 0EE31934
	v_mfma_f32_16x16x32_fp8_fp8 v[184:187], a[54:55], v[142:143], v[184:187]// 000000005E30: D3F300B8 0EE31D36
	buffer_load_dwordx4 a[148:151], v41, s[12:15], 0 offen     // 000000005E38: E05C1000 80839429
	v_mfma_f32_16x16x32_fp8_fp8 v[188:191], a[52:53], v[164:165], v[188:191]// 000000005E40: D3F300BC 0EF34934
	v_mfma_f32_16x16x32_fp8_fp8 v[188:191], a[54:55], v[166:167], v[188:191]// 000000005E48: D3F300BC 0EF34D36
	v_mfma_f32_16x16x32_fp8_fp8 v[192:195], a[56:57], v[140:141], v[192:195]// 000000005E50: D3F300C0 0F031938
	v_mfma_f32_16x16x32_fp8_fp8 v[192:195], a[58:59], v[142:143], v[192:195]// 000000005E58: D3F300C0 0F031D3A
	buffer_load_dwordx4 a[152:155], v42, s[12:15], 0 offen     // 000000005E60: E05C1000 8083982A
	v_mfma_f32_16x16x32_fp8_fp8 v[196:199], a[56:57], v[164:165], v[196:199]// 000000005E68: D3F300C4 0F134938
	v_mfma_f32_16x16x32_fp8_fp8 v[196:199], a[58:59], v[166:167], v[196:199]// 000000005E70: D3F300C4 0F134D3A
	v_mfma_f32_16x16x32_fp8_fp8 v[200:203], a[60:61], v[140:141], v[200:203]// 000000005E78: D3F300C8 0F23193C
	v_mfma_f32_16x16x32_fp8_fp8 v[200:203], a[62:63], v[142:143], v[200:203]// 000000005E80: D3F300C8 0F231D3E
	buffer_load_dwordx4 a[156:159], v43, s[12:15], 0 offen     // 000000005E88: E05C1000 80839C2B
	s_add_u32 s12, s78, s12                                    // 000000005E90: 800C0C4E
	s_addc_u32 s13, 0, s13                                     // 000000005E94: 820D0D80
	v_mfma_f32_16x16x32_fp8_fp8 v[204:207], a[60:61], v[164:165], v[204:207]// 000000005E98: D3F300CC 0F33493C
	v_mfma_f32_16x16x32_fp8_fp8 v[204:207], a[62:63], v[166:167], v[204:207]// 000000005EA0: D3F300CC 0F334D3E
	s_waitcnt vmcnt(37)                                        // 000000005EA8: BF8C8F75
	v_mfma_f32_16x16x32_fp8_fp8 v[176:179], a[64:65], v[144:145], v[176:179]// 000000005EAC: D3F300B0 0EC32140
	v_mfma_f32_16x16x32_fp8_fp8 v[176:179], a[66:67], v[146:147], v[176:179]// 000000005EB4: D3F300B0 0EC32542
	buffer_load_dwordx4 a[160:163], v40, s[12:15], 0 offen     // 000000005EBC: E05C1000 8083A028
	v_mfma_f32_16x16x32_fp8_fp8 v[180:183], a[64:65], v[168:169], v[180:183]// 000000005EC4: D3F300B4 0ED35140
	v_mfma_f32_16x16x32_fp8_fp8 v[180:183], a[66:67], v[170:171], v[180:183]// 000000005ECC: D3F300B4 0ED35542
	v_mfma_f32_16x16x32_fp8_fp8 v[184:187], a[68:69], v[144:145], v[184:187]// 000000005ED4: D3F300B8 0EE32144
	v_mfma_f32_16x16x32_fp8_fp8 v[184:187], a[70:71], v[146:147], v[184:187]// 000000005EDC: D3F300B8 0EE32546
	buffer_load_dwordx4 a[164:167], v41, s[12:15], 0 offen     // 000000005EE4: E05C1000 8083A429
	v_mfma_f32_16x16x32_fp8_fp8 v[188:191], a[68:69], v[168:169], v[188:191]// 000000005EEC: D3F300BC 0EF35144
	v_mfma_f32_16x16x32_fp8_fp8 v[188:191], a[70:71], v[170:171], v[188:191]// 000000005EF4: D3F300BC 0EF35546
	v_mfma_f32_16x16x32_fp8_fp8 v[192:195], a[72:73], v[144:145], v[192:195]// 000000005EFC: D3F300C0 0F032148
	v_mfma_f32_16x16x32_fp8_fp8 v[192:195], a[74:75], v[146:147], v[192:195]// 000000005F04: D3F300C0 0F03254A
	buffer_load_dwordx4 a[168:171], v42, s[12:15], 0 offen     // 000000005F0C: E05C1000 8083A82A
	v_mfma_f32_16x16x32_fp8_fp8 v[196:199], a[72:73], v[168:169], v[196:199]// 000000005F14: D3F300C4 0F135148
	v_mfma_f32_16x16x32_fp8_fp8 v[196:199], a[74:75], v[170:171], v[196:199]// 000000005F1C: D3F300C4 0F13554A
	v_mfma_f32_16x16x32_fp8_fp8 v[200:203], a[76:77], v[144:145], v[200:203]// 000000005F24: D3F300C8 0F23214C
	v_mfma_f32_16x16x32_fp8_fp8 v[200:203], a[78:79], v[146:147], v[200:203]// 000000005F2C: D3F300C8 0F23254E
	buffer_load_dwordx4 a[172:175], v43, s[12:15], 0 offen     // 000000005F34: E05C1000 8083AC2B
	s_add_u32 s12, s78, s12                                    // 000000005F3C: 800C0C4E
	s_addc_u32 s13, 0, s13                                     // 000000005F40: 820D0D80
	v_mfma_f32_16x16x32_fp8_fp8 v[204:207], a[76:77], v[168:169], v[204:207]// 000000005F44: D3F300CC 0F33514C
	v_mfma_f32_16x16x32_fp8_fp8 v[204:207], a[78:79], v[170:171], v[204:207]// 000000005F4C: D3F300CC 0F33554E
	s_waitcnt vmcnt(36)                                        // 000000005F54: BF8C8F74
	v_mfma_f32_16x16x32_fp8_fp8 v[176:179], a[80:81], v[148:149], v[176:179]// 000000005F58: D3F300B0 0EC32950
	v_mfma_f32_16x16x32_fp8_fp8 v[176:179], a[82:83], v[150:151], v[176:179]// 000000005F60: D3F300B0 0EC32D52
	buffer_load_dwordx4 a[176:179], v40, s[12:15], 0 offen     // 000000005F68: E05C1000 8083B028
	v_mfma_f32_16x16x32_fp8_fp8 v[180:183], a[80:81], v[172:173], v[180:183]// 000000005F70: D3F300B4 0ED35950
	v_mfma_f32_16x16x32_fp8_fp8 v[180:183], a[82:83], v[174:175], v[180:183]// 000000005F78: D3F300B4 0ED35D52
	buffer_load_dword v13, v5, s[16:19], 0 offen               // 000000005F80: E0501000 80040D05
	v_mfma_f32_16x16x32_fp8_fp8 v[184:187], a[84:85], v[148:149], v[184:187]// 000000005F88: D3F300B8 0EE32954
	v_mfma_f32_16x16x32_fp8_fp8 v[184:187], a[86:87], v[150:151], v[184:187]// 000000005F90: D3F300B8 0EE32D56
	buffer_load_dwordx4 a[180:183], v41, s[12:15], 0 offen     // 000000005F98: E05C1000 8083B429
	v_mfma_f32_16x16x32_fp8_fp8 v[188:191], a[84:85], v[172:173], v[188:191]// 000000005FA0: D3F300BC 0EF35954
	v_mfma_f32_16x16x32_fp8_fp8 v[188:191], a[86:87], v[174:175], v[188:191]// 000000005FA8: D3F300BC 0EF35D56
	v_mfma_f32_16x16x32_fp8_fp8 v[192:195], a[88:89], v[148:149], v[192:195]// 000000005FB0: D3F300C0 0F032958
	v_mfma_f32_16x16x32_fp8_fp8 v[192:195], a[90:91], v[150:151], v[192:195]// 000000005FB8: D3F300C0 0F032D5A
	buffer_load_dwordx4 a[184:187], v42, s[12:15], 0 offen     // 000000005FC0: E05C1000 8083B82A
	v_mfma_f32_16x16x32_fp8_fp8 v[196:199], a[88:89], v[172:173], v[196:199]// 000000005FC8: D3F300C4 0F135958
	v_mfma_f32_16x16x32_fp8_fp8 v[196:199], a[90:91], v[174:175], v[196:199]// 000000005FD0: D3F300C4 0F135D5A
	v_mfma_f32_16x16x32_fp8_fp8 v[200:203], a[92:93], v[148:149], v[200:203]// 000000005FD8: D3F300C8 0F23295C
	v_mfma_f32_16x16x32_fp8_fp8 v[200:203], a[94:95], v[150:151], v[200:203]// 000000005FE0: D3F300C8 0F232D5E
	buffer_load_dwordx4 a[188:191], v43, s[12:15], 0 offen     // 000000005FE8: E05C1000 8083BC2B
	v_mfma_f32_16x16x32_fp8_fp8 v[204:207], a[92:93], v[172:173], v[204:207]// 000000005FF0: D3F300CC 0F33595C
	v_mfma_f32_16x16x32_fp8_fp8 v[204:207], a[94:95], v[174:175], v[204:207]// 000000005FF8: D3F300CC 0F335D5E
	s_add_u32 s60, 0x200, s80                                  // 000000006000: 803C50FF 00000200
	s_cmp_lt_u32 s60, s81                                      // 000000006008: BF0A513C
	s_cselect_b32 s56, s56, 0                                  // 00000000600C: 85388038
	s_cselect_b32 s78, s78, 0                                  // 000000006010: 854E804E
	s_cselect_b32 s79, s79, 0                                  // 000000006014: 854F804F
	s_add_u32 s12, s56, s12                                    // 000000006018: 800C0C38
	s_addc_u32 s13, 0, s13                                     // 00000000601C: 820D0D80
	s_add_u32 s16, s79, s16                                    // 000000006020: 8010104F
	s_addc_u32 s17, 0, s17                                     // 000000006024: 82111180
	v_mul_f32_e32 v176, v24, v176                              // 000000006028: 0B616118
	v_mul_f32_e32 v177, v24, v177                              // 00000000602C: 0B636318
	v_mul_f32_e32 v178, v24, v178                              // 000000006030: 0B656518
	v_mul_f32_e32 v179, v24, v179                              // 000000006034: 0B676718
	v_mul_f32_dpp v176, v12, v176 row_newbcast:0 row_mask:0xf bank_mask:0xf// 000000006038: 0B6160FA FF01500C
	v_mul_f32_dpp v177, v12, v177 row_newbcast:1 row_mask:0xf bank_mask:0xf// 000000006040: 0B6362FA FF01510C
	v_mul_f32_dpp v178, v12, v178 row_newbcast:2 row_mask:0xf bank_mask:0xf// 000000006048: 0B6564FA FF01520C
	v_mul_f32_dpp v179, v12, v179 row_newbcast:3 row_mask:0xf bank_mask:0xf// 000000006050: 0B6766FA FF01530C
	v_mul_f32_e32 v176, v20, v176                              // 000000006058: 0B616114
	v_mul_f32_e32 v177, v20, v177                              // 00000000605C: 0B636314
	v_mul_f32_e32 v178, v20, v178                              // 000000006060: 0B656514
	v_mul_f32_e32 v179, v20, v179                              // 000000006064: 0B676714
	v_mul_f32_e32 v180, v25, v180                              // 000000006068: 0B696919
	v_mul_f32_e32 v181, v25, v181                              // 00000000606C: 0B6B6B19
	v_mul_f32_e32 v182, v25, v182                              // 000000006070: 0B6D6D19
	v_mul_f32_e32 v183, v25, v183                              // 000000006074: 0B6F6F19
	v_mul_f32_dpp v180, v12, v180 row_newbcast:0 row_mask:0xf bank_mask:0xf// 000000006078: 0B6968FA FF01500C
	v_mul_f32_dpp v181, v12, v181 row_newbcast:1 row_mask:0xf bank_mask:0xf// 000000006080: 0B6B6AFA FF01510C
	v_mul_f32_dpp v182, v12, v182 row_newbcast:2 row_mask:0xf bank_mask:0xf// 000000006088: 0B6D6CFA FF01520C
	v_mul_f32_dpp v183, v12, v183 row_newbcast:3 row_mask:0xf bank_mask:0xf// 000000006090: 0B6F6EFA FF01530C
	v_mul_f32_e32 v180, v21, v180                              // 000000006098: 0B696915
	v_mul_f32_e32 v181, v21, v181                              // 00000000609C: 0B6B6B15
	v_mul_f32_e32 v182, v21, v182                              // 0000000060A0: 0B6D6D15
	v_mul_f32_e32 v183, v21, v183                              // 0000000060A4: 0B6F6F15
	v_mul_f32_e32 v184, v24, v184                              // 0000000060A8: 0B717118
	v_mul_f32_e32 v185, v24, v185                              // 0000000060AC: 0B737318
	v_mul_f32_e32 v186, v24, v186                              // 0000000060B0: 0B757518
	v_mul_f32_e32 v187, v24, v187                              // 0000000060B4: 0B777718
	v_mul_f32_dpp v184, v12, v184 row_newbcast:4 row_mask:0xf bank_mask:0xf// 0000000060B8: 0B7170FA FF01540C
	v_mul_f32_dpp v185, v12, v185 row_newbcast:5 row_mask:0xf bank_mask:0xf// 0000000060C0: 0B7372FA FF01550C
	v_mul_f32_dpp v186, v12, v186 row_newbcast:6 row_mask:0xf bank_mask:0xf// 0000000060C8: 0B7574FA FF01560C
	v_mul_f32_dpp v187, v12, v187 row_newbcast:7 row_mask:0xf bank_mask:0xf// 0000000060D0: 0B7776FA FF01570C
	v_mul_f32_e32 v184, v20, v184                              // 0000000060D8: 0B717114
	v_mul_f32_e32 v185, v20, v185                              // 0000000060DC: 0B737314
	v_mul_f32_e32 v186, v20, v186                              // 0000000060E0: 0B757514
	v_mul_f32_e32 v187, v20, v187                              // 0000000060E4: 0B777714
	v_mul_f32_e32 v188, v25, v188                              // 0000000060E8: 0B797919
	v_mul_f32_e32 v189, v25, v189                              // 0000000060EC: 0B7B7B19
	v_mul_f32_e32 v190, v25, v190                              // 0000000060F0: 0B7D7D19
	v_mul_f32_e32 v191, v25, v191                              // 0000000060F4: 0B7F7F19
	v_mul_f32_dpp v188, v12, v188 row_newbcast:4 row_mask:0xf bank_mask:0xf// 0000000060F8: 0B7978FA FF01540C
	v_mul_f32_dpp v189, v12, v189 row_newbcast:5 row_mask:0xf bank_mask:0xf// 000000006100: 0B7B7AFA FF01550C
	v_mul_f32_dpp v190, v12, v190 row_newbcast:6 row_mask:0xf bank_mask:0xf// 000000006108: 0B7D7CFA FF01560C
	v_mul_f32_dpp v191, v12, v191 row_newbcast:7 row_mask:0xf bank_mask:0xf// 000000006110: 0B7F7EFA FF01570C
	v_mul_f32_e32 v188, v21, v188                              // 000000006118: 0B797915
	v_mul_f32_e32 v189, v21, v189                              // 00000000611C: 0B7B7B15
	v_mul_f32_e32 v190, v21, v190                              // 000000006120: 0B7D7D15
	v_mul_f32_e32 v191, v21, v191                              // 000000006124: 0B7F7F15
	v_mul_f32_e32 v192, v24, v192                              // 000000006128: 0B818118
	v_mul_f32_e32 v193, v24, v193                              // 00000000612C: 0B838318
	v_mul_f32_e32 v194, v24, v194                              // 000000006130: 0B858518
	v_mul_f32_e32 v195, v24, v195                              // 000000006134: 0B878718
	v_mul_f32_dpp v192, v12, v192 row_newbcast:8 row_mask:0xf bank_mask:0xf// 000000006138: 0B8180FA FF01580C
	v_mul_f32_dpp v193, v12, v193 row_newbcast:9 row_mask:0xf bank_mask:0xf// 000000006140: 0B8382FA FF01590C
	v_mul_f32_dpp v194, v12, v194 row_newbcast:10 row_mask:0xf bank_mask:0xf// 000000006148: 0B8584FA FF015A0C
	v_mul_f32_dpp v195, v12, v195 row_newbcast:11 row_mask:0xf bank_mask:0xf// 000000006150: 0B8786FA FF015B0C
	v_mul_f32_e32 v192, v20, v192                              // 000000006158: 0B818114
	v_mul_f32_e32 v193, v20, v193                              // 00000000615C: 0B838314
	v_mul_f32_e32 v194, v20, v194                              // 000000006160: 0B858514
	v_mul_f32_e32 v195, v20, v195                              // 000000006164: 0B878714
	v_mul_f32_e32 v196, v25, v196                              // 000000006168: 0B898919
	v_mul_f32_e32 v197, v25, v197                              // 00000000616C: 0B8B8B19
	v_mul_f32_e32 v198, v25, v198                              // 000000006170: 0B8D8D19
	v_mul_f32_e32 v199, v25, v199                              // 000000006174: 0B8F8F19
	v_mul_f32_dpp v196, v12, v196 row_newbcast:8 row_mask:0xf bank_mask:0xf// 000000006178: 0B8988FA FF01580C
	v_mul_f32_dpp v197, v12, v197 row_newbcast:9 row_mask:0xf bank_mask:0xf// 000000006180: 0B8B8AFA FF01590C
	v_mul_f32_dpp v198, v12, v198 row_newbcast:10 row_mask:0xf bank_mask:0xf// 000000006188: 0B8D8CFA FF015A0C
	v_mul_f32_dpp v199, v12, v199 row_newbcast:11 row_mask:0xf bank_mask:0xf// 000000006190: 0B8F8EFA FF015B0C
	v_mul_f32_e32 v196, v21, v196                              // 000000006198: 0B898915
	v_mul_f32_e32 v197, v21, v197                              // 00000000619C: 0B8B8B15
	v_mul_f32_e32 v198, v21, v198                              // 0000000061A0: 0B8D8D15
	v_mul_f32_e32 v199, v21, v199                              // 0000000061A4: 0B8F8F15
	v_mul_f32_e32 v200, v24, v200                              // 0000000061A8: 0B919118
	v_mul_f32_e32 v201, v24, v201                              // 0000000061AC: 0B939318
	v_mul_f32_e32 v202, v24, v202                              // 0000000061B0: 0B959518
	v_mul_f32_e32 v203, v24, v203                              // 0000000061B4: 0B979718
	v_mul_f32_dpp v200, v12, v200 row_newbcast:12 row_mask:0xf bank_mask:0xf// 0000000061B8: 0B9190FA FF015C0C
	v_mul_f32_dpp v201, v12, v201 row_newbcast:13 row_mask:0xf bank_mask:0xf// 0000000061C0: 0B9392FA FF015D0C
	v_mul_f32_dpp v202, v12, v202 row_newbcast:14 row_mask:0xf bank_mask:0xf// 0000000061C8: 0B9594FA FF015E0C
	v_mul_f32_dpp v203, v12, v203 row_newbcast:15 row_mask:0xf bank_mask:0xf// 0000000061D0: 0B9796FA FF015F0C
	v_mul_f32_e32 v200, v20, v200                              // 0000000061D8: 0B919114
	v_mul_f32_e32 v201, v20, v201                              // 0000000061DC: 0B939314
	v_mul_f32_e32 v202, v20, v202                              // 0000000061E0: 0B959514
	v_mul_f32_e32 v203, v20, v203                              // 0000000061E4: 0B979714
	v_mul_f32_e32 v204, v25, v204                              // 0000000061E8: 0B999919
	v_mul_f32_e32 v205, v25, v205                              // 0000000061EC: 0B9B9B19
	v_mul_f32_e32 v206, v25, v206                              // 0000000061F0: 0B9D9D19
	v_mul_f32_e32 v207, v25, v207                              // 0000000061F4: 0B9F9F19
	v_mul_f32_dpp v204, v12, v204 row_newbcast:12 row_mask:0xf bank_mask:0xf// 0000000061F8: 0B9998FA FF015C0C
	v_mul_f32_dpp v205, v12, v205 row_newbcast:13 row_mask:0xf bank_mask:0xf// 000000006200: 0B9B9AFA FF015D0C
	v_mul_f32_dpp v206, v12, v206 row_newbcast:14 row_mask:0xf bank_mask:0xf// 000000006208: 0B9D9CFA FF015E0C
	v_mul_f32_dpp v207, v12, v207 row_newbcast:15 row_mask:0xf bank_mask:0xf// 000000006210: 0B9F9EFA FF015F0C
	v_mul_f32_e32 v204, v21, v204                              // 000000006218: 0B999915
	v_mul_f32_e32 v205, v21, v205                              // 00000000621C: 0B9B9B15
	v_mul_f32_e32 v206, v21, v206                              // 000000006220: 0B9D9D15
	v_mul_f32_e32 v207, v21, v207                              // 000000006224: 0B9F9F15
	v_cvt_pkrtz_f16_f32 v176, v176, v177                       // 000000006228: D29600B0 000363B0
	v_cvt_pkrtz_f16_f32 v177, v178, v179                       // 000000006230: D29600B1 000367B2
	v_cvt_pkrtz_f16_f32 v178, v180, v181                       // 000000006238: D29600B2 00036BB4
	v_cvt_pkrtz_f16_f32 v179, v182, v183                       // 000000006240: D29600B3 00036FB6
	v_cvt_pkrtz_f16_f32 v180, v184, v185                       // 000000006248: D29600B4 000373B8
	v_cvt_pkrtz_f16_f32 v181, v186, v187                       // 000000006250: D29600B5 000377BA
	v_cvt_pkrtz_f16_f32 v182, v188, v189                       // 000000006258: D29600B6 00037BBC
	v_cvt_pkrtz_f16_f32 v183, v190, v191                       // 000000006260: D29600B7 00037FBE
	v_cvt_pkrtz_f16_f32 v184, v192, v193                       // 000000006268: D29600B8 000383C0
	v_cvt_pkrtz_f16_f32 v185, v194, v195                       // 000000006270: D29600B9 000387C2
	v_cvt_pkrtz_f16_f32 v186, v196, v197                       // 000000006278: D29600BA 00038BC4
	v_cvt_pkrtz_f16_f32 v187, v198, v199                       // 000000006280: D29600BB 00038FC6
	v_cvt_pkrtz_f16_f32 v188, v200, v201                       // 000000006288: D29600BC 000393C8
	v_cvt_pkrtz_f16_f32 v189, v202, v203                       // 000000006290: D29600BD 000397CA
	v_cvt_pkrtz_f16_f32 v190, v204, v205                       // 000000006298: D29600BE 00039BCC
	v_cvt_pkrtz_f16_f32 v191, v206, v207                       // 0000000062A0: D29600BF 00039FCE
	ds_write_b64 v3, v[176:177] offset:30976                   // 0000000062A8: D89A7900 0000B003
	ds_write_b64 v3, v[178:179] offset:39680                   // 0000000062B0: D89A9B00 0000B203
	ds_write_b64 v3, v[180:181] offset:33152                   // 0000000062B8: D89A8180 0000B403
	ds_write_b64 v3, v[182:183] offset:41856                   // 0000000062C0: D89AA380 0000B603
	ds_write_b64 v3, v[184:185] offset:35328                   // 0000000062C8: D89A8A00 0000B803
	ds_write_b64 v3, v[186:187] offset:44032                   // 0000000062D0: D89AAC00 0000BA03
	ds_write_b64 v3, v[188:189] offset:37504                   // 0000000062D8: D89A9280 0000BC03
	ds_write_b64 v3, v[190:191] offset:46208                   // 0000000062E0: D89AB480 0000BE03
	s_waitcnt lgkmcnt(0)                                       // 0000000062E8: BF8CC07F
	s_barrier                                                  // 0000000062EC: BF8A0000
	ds_read_b32 v64, v4 offset:30976                           // 0000000062F0: D86C7900 40000004
	ds_read_b32 v65, v4 offset:35328                           // 0000000062F8: D86C8A00 41000004
	ds_read_b32 v66, v4 offset:31008                           // 000000006300: D86C7920 42000004
	ds_read_b32 v67, v4 offset:35360                           // 000000006308: D86C8A20 43000004
	ds_read_b32 v68, v4 offset:31040                           // 000000006310: D86C7940 44000004
	ds_read_b32 v69, v4 offset:35392                           // 000000006318: D86C8A40 45000004
	ds_read_b32 v70, v4 offset:31072                           // 000000006320: D86C7960 46000004
	ds_read_b32 v71, v4 offset:35424                           // 000000006328: D86C8A60 47000004
	ds_read_b32 v72, v4 offset:39680                           // 000000006330: D86C9B00 48000004
	ds_read_b32 v73, v4 offset:44032                           // 000000006338: D86CAC00 49000004
	ds_read_b32 v74, v4 offset:39712                           // 000000006340: D86C9B20 4A000004
	ds_read_b32 v75, v4 offset:44064                           // 000000006348: D86CAC20 4B000004
	ds_read_b32 v76, v4 offset:39744                           // 000000006350: D86C9B40 4C000004
	ds_read_b32 v77, v4 offset:44096                           // 000000006358: D86CAC40 4D000004
	ds_read_b32 v78, v4 offset:39776                           // 000000006360: D86C9B60 4E000004
	ds_read_b32 v79, v4 offset:44128                           // 000000006368: D86CAC60 4F000004
	s_waitcnt lgkmcnt(0)                                       // 000000006370: BF8CC07F
	s_mov_b64 exec, s[20:21]                                   // 000000006374: BEFE0114
	global_atomic_pk_add_f16 v80, v64, s[8:9]                  // 000000006378: DD388000 00084050
	s_mov_b64 exec, s[36:37]                                   // 000000006380: BEFE0124
	s_mov_b64 exec, s[20:21]                                   // 000000006384: BEFE0114
	global_atomic_pk_add_f16 v80, v65, s[8:9] offset:256       // 000000006388: DD388100 00084150
	s_mov_b64 exec, s[36:37]                                   // 000000006390: BEFE0124
	s_mov_b64 exec, s[22:23]                                   // 000000006394: BEFE0116
	global_atomic_pk_add_f16 v82, v66, s[8:9]                  // 000000006398: DD388000 00084252
	s_mov_b64 exec, s[36:37]                                   // 0000000063A0: BEFE0124
	s_mov_b64 exec, s[22:23]                                   // 0000000063A4: BEFE0116
	global_atomic_pk_add_f16 v82, v67, s[8:9] offset:256       // 0000000063A8: DD388100 00084352
	s_mov_b64 exec, s[36:37]                                   // 0000000063B0: BEFE0124
	s_mov_b64 exec, s[24:25]                                   // 0000000063B4: BEFE0118
	global_atomic_pk_add_f16 v84, v68, s[8:9]                  // 0000000063B8: DD388000 00084454
	s_mov_b64 exec, s[36:37]                                   // 0000000063C0: BEFE0124
	s_mov_b64 exec, s[24:25]                                   // 0000000063C4: BEFE0118
	global_atomic_pk_add_f16 v84, v69, s[8:9] offset:256       // 0000000063C8: DD388100 00084554
	s_mov_b64 exec, s[36:37]                                   // 0000000063D0: BEFE0124
	s_mov_b64 exec, s[26:27]                                   // 0000000063D4: BEFE011A
	global_atomic_pk_add_f16 v86, v70, s[8:9]                  // 0000000063D8: DD388000 00084656
	s_mov_b64 exec, s[36:37]                                   // 0000000063E0: BEFE0124
	s_mov_b64 exec, s[26:27]                                   // 0000000063E4: BEFE011A
	global_atomic_pk_add_f16 v86, v71, s[8:9] offset:256       // 0000000063E8: DD388100 00084756
	s_mov_b64 exec, s[36:37]                                   // 0000000063F0: BEFE0124
	s_mov_b64 exec, s[28:29]                                   // 0000000063F4: BEFE011C
	global_atomic_pk_add_f16 v88, v72, s[8:9]                  // 0000000063F8: DD388000 00084858
	s_mov_b64 exec, s[36:37]                                   // 000000006400: BEFE0124
	s_mov_b64 exec, s[28:29]                                   // 000000006404: BEFE011C
	global_atomic_pk_add_f16 v88, v73, s[8:9] offset:256       // 000000006408: DD388100 00084958
	s_mov_b64 exec, s[36:37]                                   // 000000006410: BEFE0124
	s_mov_b64 exec, s[30:31]                                   // 000000006414: BEFE011E
	global_atomic_pk_add_f16 v90, v74, s[8:9]                  // 000000006418: DD388000 00084A5A
	s_mov_b64 exec, s[36:37]                                   // 000000006420: BEFE0124
	s_mov_b64 exec, s[30:31]                                   // 000000006424: BEFE011E
	global_atomic_pk_add_f16 v90, v75, s[8:9] offset:256       // 000000006428: DD388100 00084B5A
	s_mov_b64 exec, s[36:37]                                   // 000000006430: BEFE0124
	s_mov_b64 exec, s[32:33]                                   // 000000006434: BEFE0120
	global_atomic_pk_add_f16 v92, v76, s[8:9]                  // 000000006438: DD388000 00084C5C
	s_mov_b64 exec, s[36:37]                                   // 000000006440: BEFE0124
	s_mov_b64 exec, s[32:33]                                   // 000000006444: BEFE0120
	global_atomic_pk_add_f16 v92, v77, s[8:9] offset:256       // 000000006448: DD388100 00084D5C
	s_mov_b64 exec, s[36:37]                                   // 000000006450: BEFE0124
	s_mov_b64 exec, s[34:35]                                   // 000000006454: BEFE0122
	global_atomic_pk_add_f16 v94, v78, s[8:9]                  // 000000006458: DD388000 00084E5E
	s_mov_b64 exec, s[36:37]                                   // 000000006460: BEFE0124
	s_mov_b64 exec, s[34:35]                                   // 000000006464: BEFE0122
	global_atomic_pk_add_f16 v94, v79, s[8:9] offset:256       // 000000006468: DD388100 00084F5E
	s_mov_b64 exec, s[36:37]                                   // 000000006470: BEFE0124
	s_add_u32 s8, s59, s8                                      // 000000006474: 8008083B
	s_addc_u32 s9, 0, s9                                       // 000000006478: 82090980
	s_addk_i32 s80, 0x100                                      // 00000000647C: B7500100
	s_cmp_lt_i32 s80, s81                                      // 000000006480: BF045150
	s_cbranch_scc0 label_0FC8                                  // 000000006484: BF840226
	s_waitcnt vmcnt(37)                                        // 000000006488: BF8C8F75
	s_barrier                                                  // 00000000648C: BF8A0000
	v_mfma_f32_16x16x32_fp8_fp8 v[208:211], a[96:97], v[128:129], 0// 000000006490: D3F300D0 0A030160
	v_mfma_f32_16x16x32_fp8_fp8 v[208:211], a[98:99], v[130:131], v[208:211]// 000000006498: D3F300D0 0F430562
	buffer_load_dwordx4 a[0:3], v40, s[12:15], 0 offen         // 0000000064A0: E05C1000 80830028
	v_mfma_f32_16x16x32_fp8_fp8 v[212:215], a[96:97], v[152:153], 0// 0000000064A8: D3F300D4 0A033160
	v_mfma_f32_16x16x32_fp8_fp8 v[212:215], a[98:99], v[154:155], v[212:215]// 0000000064B0: D3F300D4 0F533562
	v_mfma_f32_16x16x32_fp8_fp8 v[216:219], a[100:101], v[128:129], 0// 0000000064B8: D3F300D8 0A030164
	v_mfma_f32_16x16x32_fp8_fp8 v[216:219], a[102:103], v[130:131], v[216:219]// 0000000064C0: D3F300D8 0F630566
	buffer_load_dwordx4 a[4:7], v41, s[12:15], 0 offen         // 0000000064C8: E05C1000 80830429
	v_mfma_f32_16x16x32_fp8_fp8 v[220:223], a[100:101], v[152:153], 0// 0000000064D0: D3F300DC 0A033164
	v_mfma_f32_16x16x32_fp8_fp8 v[220:223], a[102:103], v[154:155], v[220:223]// 0000000064D8: D3F300DC 0F733566
	v_mfma_f32_16x16x32_fp8_fp8 v[224:227], a[104:105], v[128:129], 0// 0000000064E0: D3F300E0 0A030168
	v_mfma_f32_16x16x32_fp8_fp8 v[224:227], a[106:107], v[130:131], v[224:227]// 0000000064E8: D3F300E0 0F83056A
	buffer_load_dwordx4 a[8:11], v42, s[12:15], 0 offen        // 0000000064F0: E05C1000 8083082A
	v_mfma_f32_16x16x32_fp8_fp8 v[228:231], a[104:105], v[152:153], 0// 0000000064F8: D3F300E4 0A033168
	v_mfma_f32_16x16x32_fp8_fp8 v[228:231], a[106:107], v[154:155], v[228:231]// 000000006500: D3F300E4 0F93356A
	v_mfma_f32_16x16x32_fp8_fp8 v[232:235], a[108:109], v[128:129], 0// 000000006508: D3F300E8 0A03016C
	v_mfma_f32_16x16x32_fp8_fp8 v[232:235], a[110:111], v[130:131], v[232:235]// 000000006510: D3F300E8 0FA3056E
	buffer_load_dwordx4 a[12:15], v43, s[12:15], 0 offen       // 000000006518: E05C1000 80830C2B
	s_add_u32 s12, s78, s12                                    // 000000006520: 800C0C4E
	s_addc_u32 s13, 0, s13                                     // 000000006524: 820D0D80
	v_mfma_f32_16x16x32_fp8_fp8 v[236:239], a[108:109], v[152:153], 0// 000000006528: D3F300EC 0A03316C
	v_mfma_f32_16x16x32_fp8_fp8 v[236:239], a[110:111], v[154:155], v[236:239]// 000000006530: D3F300EC 0FB3356E
	s_waitcnt vmcnt(37)                                        // 000000006538: BF8C8F75
	v_mfma_f32_16x16x32_fp8_fp8 v[208:211], a[112:113], v[132:133], v[208:211]// 00000000653C: D3F300D0 0F430970
	v_mfma_f32_16x16x32_fp8_fp8 v[208:211], a[114:115], v[134:135], v[208:211]// 000000006544: D3F300D0 0F430D72
	buffer_load_dwordx4 a[16:19], v40, s[12:15], 0 offen       // 00000000654C: E05C1000 80831028
	v_mfma_f32_16x16x32_fp8_fp8 v[212:215], a[112:113], v[156:157], v[212:215]// 000000006554: D3F300D4 0F533970
	v_mfma_f32_16x16x32_fp8_fp8 v[212:215], a[114:115], v[158:159], v[212:215]// 00000000655C: D3F300D4 0F533D72
	v_mfma_f32_16x16x32_fp8_fp8 v[216:219], a[116:117], v[132:133], v[216:219]// 000000006564: D3F300D8 0F630974
	v_mfma_f32_16x16x32_fp8_fp8 v[216:219], a[118:119], v[134:135], v[216:219]// 00000000656C: D3F300D8 0F630D76
	buffer_load_dwordx4 a[20:23], v41, s[12:15], 0 offen       // 000000006574: E05C1000 80831429
	v_mfma_f32_16x16x32_fp8_fp8 v[220:223], a[116:117], v[156:157], v[220:223]// 00000000657C: D3F300DC 0F733974
	v_mfma_f32_16x16x32_fp8_fp8 v[220:223], a[118:119], v[158:159], v[220:223]// 000000006584: D3F300DC 0F733D76
	v_mfma_f32_16x16x32_fp8_fp8 v[224:227], a[120:121], v[132:133], v[224:227]// 00000000658C: D3F300E0 0F830978
	v_mfma_f32_16x16x32_fp8_fp8 v[224:227], a[122:123], v[134:135], v[224:227]// 000000006594: D3F300E0 0F830D7A
	buffer_load_dwordx4 a[24:27], v42, s[12:15], 0 offen       // 00000000659C: E05C1000 8083182A
	v_mfma_f32_16x16x32_fp8_fp8 v[228:231], a[120:121], v[156:157], v[228:231]// 0000000065A4: D3F300E4 0F933978
	v_mfma_f32_16x16x32_fp8_fp8 v[228:231], a[122:123], v[158:159], v[228:231]// 0000000065AC: D3F300E4 0F933D7A
	v_mfma_f32_16x16x32_fp8_fp8 v[232:235], a[124:125], v[132:133], v[232:235]// 0000000065B4: D3F300E8 0FA3097C
	v_mfma_f32_16x16x32_fp8_fp8 v[232:235], a[126:127], v[134:135], v[232:235]// 0000000065BC: D3F300E8 0FA30D7E
	buffer_load_dwordx4 a[28:31], v43, s[12:15], 0 offen       // 0000000065C4: E05C1000 80831C2B
	s_add_u32 s12, s78, s12                                    // 0000000065CC: 800C0C4E
	s_addc_u32 s13, 0, s13                                     // 0000000065D0: 820D0D80
	v_mfma_f32_16x16x32_fp8_fp8 v[236:239], a[124:125], v[156:157], v[236:239]// 0000000065D4: D3F300EC 0FB3397C
	v_mfma_f32_16x16x32_fp8_fp8 v[236:239], a[126:127], v[158:159], v[236:239]// 0000000065DC: D3F300EC 0FB33D7E
	s_waitcnt vmcnt(37)                                        // 0000000065E4: BF8C8F75
	v_mfma_f32_16x16x32_fp8_fp8 v[208:211], a[128:129], v[136:137], v[208:211]// 0000000065E8: D3F300D0 0F431180
	v_mfma_f32_16x16x32_fp8_fp8 v[208:211], a[130:131], v[138:139], v[208:211]// 0000000065F0: D3F300D0 0F431582
	buffer_load_dwordx4 a[32:35], v40, s[12:15], 0 offen       // 0000000065F8: E05C1000 80832028
	v_mfma_f32_16x16x32_fp8_fp8 v[212:215], a[128:129], v[160:161], v[212:215]// 000000006600: D3F300D4 0F534180
	v_mfma_f32_16x16x32_fp8_fp8 v[212:215], a[130:131], v[162:163], v[212:215]// 000000006608: D3F300D4 0F534582
	v_mfma_f32_16x16x32_fp8_fp8 v[216:219], a[132:133], v[136:137], v[216:219]// 000000006610: D3F300D8 0F631184
	v_mfma_f32_16x16x32_fp8_fp8 v[216:219], a[134:135], v[138:139], v[216:219]// 000000006618: D3F300D8 0F631586
	buffer_load_dwordx4 a[36:39], v41, s[12:15], 0 offen       // 000000006620: E05C1000 80832429
	v_mfma_f32_16x16x32_fp8_fp8 v[220:223], a[132:133], v[160:161], v[220:223]// 000000006628: D3F300DC 0F734184
	v_mfma_f32_16x16x32_fp8_fp8 v[220:223], a[134:135], v[162:163], v[220:223]// 000000006630: D3F300DC 0F734586
	v_mfma_f32_16x16x32_fp8_fp8 v[224:227], a[136:137], v[136:137], v[224:227]// 000000006638: D3F300E0 0F831188
	v_mfma_f32_16x16x32_fp8_fp8 v[224:227], a[138:139], v[138:139], v[224:227]// 000000006640: D3F300E0 0F83158A
	buffer_load_dwordx4 a[40:43], v42, s[12:15], 0 offen       // 000000006648: E05C1000 8083282A
	v_mfma_f32_16x16x32_fp8_fp8 v[228:231], a[136:137], v[160:161], v[228:231]// 000000006650: D3F300E4 0F934188
	v_mfma_f32_16x16x32_fp8_fp8 v[228:231], a[138:139], v[162:163], v[228:231]// 000000006658: D3F300E4 0F93458A
	v_mfma_f32_16x16x32_fp8_fp8 v[232:235], a[140:141], v[136:137], v[232:235]// 000000006660: D3F300E8 0FA3118C
	v_mfma_f32_16x16x32_fp8_fp8 v[232:235], a[142:143], v[138:139], v[232:235]// 000000006668: D3F300E8 0FA3158E
	buffer_load_dwordx4 a[44:47], v43, s[12:15], 0 offen       // 000000006670: E05C1000 80832C2B
	s_add_u32 s12, s78, s12                                    // 000000006678: 800C0C4E
	s_addc_u32 s13, 0, s13                                     // 00000000667C: 820D0D80
	v_mfma_f32_16x16x32_fp8_fp8 v[236:239], a[140:141], v[160:161], v[236:239]// 000000006680: D3F300EC 0FB3418C
	v_mfma_f32_16x16x32_fp8_fp8 v[236:239], a[142:143], v[162:163], v[236:239]// 000000006688: D3F300EC 0FB3458E
	s_waitcnt vmcnt(37)                                        // 000000006690: BF8C8F75
	v_mfma_f32_16x16x32_fp8_fp8 v[208:211], a[144:145], v[140:141], v[208:211]// 000000006694: D3F300D0 0F431990
	v_mfma_f32_16x16x32_fp8_fp8 v[208:211], a[146:147], v[142:143], v[208:211]// 00000000669C: D3F300D0 0F431D92
	buffer_load_dwordx4 a[48:51], v40, s[12:15], 0 offen       // 0000000066A4: E05C1000 80833028
	v_mfma_f32_16x16x32_fp8_fp8 v[212:215], a[144:145], v[164:165], v[212:215]// 0000000066AC: D3F300D4 0F534990
	v_mfma_f32_16x16x32_fp8_fp8 v[212:215], a[146:147], v[166:167], v[212:215]// 0000000066B4: D3F300D4 0F534D92
	v_mfma_f32_16x16x32_fp8_fp8 v[216:219], a[148:149], v[140:141], v[216:219]// 0000000066BC: D3F300D8 0F631994
	v_mfma_f32_16x16x32_fp8_fp8 v[216:219], a[150:151], v[142:143], v[216:219]// 0000000066C4: D3F300D8 0F631D96
	buffer_load_dwordx4 a[52:55], v41, s[12:15], 0 offen       // 0000000066CC: E05C1000 80833429
	v_mfma_f32_16x16x32_fp8_fp8 v[220:223], a[148:149], v[164:165], v[220:223]// 0000000066D4: D3F300DC 0F734994
	v_mfma_f32_16x16x32_fp8_fp8 v[220:223], a[150:151], v[166:167], v[220:223]// 0000000066DC: D3F300DC 0F734D96
	v_mfma_f32_16x16x32_fp8_fp8 v[224:227], a[152:153], v[140:141], v[224:227]// 0000000066E4: D3F300E0 0F831998
	v_mfma_f32_16x16x32_fp8_fp8 v[224:227], a[154:155], v[142:143], v[224:227]// 0000000066EC: D3F300E0 0F831D9A
	buffer_load_dwordx4 a[56:59], v42, s[12:15], 0 offen       // 0000000066F4: E05C1000 8083382A
	v_mfma_f32_16x16x32_fp8_fp8 v[228:231], a[152:153], v[164:165], v[228:231]// 0000000066FC: D3F300E4 0F934998
	v_mfma_f32_16x16x32_fp8_fp8 v[228:231], a[154:155], v[166:167], v[228:231]// 000000006704: D3F300E4 0F934D9A
	v_mfma_f32_16x16x32_fp8_fp8 v[232:235], a[156:157], v[140:141], v[232:235]// 00000000670C: D3F300E8 0FA3199C
	v_mfma_f32_16x16x32_fp8_fp8 v[232:235], a[158:159], v[142:143], v[232:235]// 000000006714: D3F300E8 0FA31D9E
	buffer_load_dwordx4 a[60:63], v43, s[12:15], 0 offen       // 00000000671C: E05C1000 80833C2B
	s_add_u32 s12, s78, s12                                    // 000000006724: 800C0C4E
	s_addc_u32 s13, 0, s13                                     // 000000006728: 820D0D80
	v_mfma_f32_16x16x32_fp8_fp8 v[236:239], a[156:157], v[164:165], v[236:239]// 00000000672C: D3F300EC 0FB3499C
	v_mfma_f32_16x16x32_fp8_fp8 v[236:239], a[158:159], v[166:167], v[236:239]// 000000006734: D3F300EC 0FB34D9E
	s_waitcnt vmcnt(37)                                        // 00000000673C: BF8C8F75
	v_mfma_f32_16x16x32_fp8_fp8 v[208:211], a[160:161], v[144:145], v[208:211]// 000000006740: D3F300D0 0F4321A0
	v_mfma_f32_16x16x32_fp8_fp8 v[208:211], a[162:163], v[146:147], v[208:211]// 000000006748: D3F300D0 0F4325A2
	buffer_load_dwordx4 a[64:67], v40, s[12:15], 0 offen       // 000000006750: E05C1000 80834028
	v_mfma_f32_16x16x32_fp8_fp8 v[212:215], a[160:161], v[168:169], v[212:215]// 000000006758: D3F300D4 0F5351A0
	v_mfma_f32_16x16x32_fp8_fp8 v[212:215], a[162:163], v[170:171], v[212:215]// 000000006760: D3F300D4 0F5355A2
	v_mfma_f32_16x16x32_fp8_fp8 v[216:219], a[164:165], v[144:145], v[216:219]// 000000006768: D3F300D8 0F6321A4
	v_mfma_f32_16x16x32_fp8_fp8 v[216:219], a[166:167], v[146:147], v[216:219]// 000000006770: D3F300D8 0F6325A6
	buffer_load_dwordx4 a[68:71], v41, s[12:15], 0 offen       // 000000006778: E05C1000 80834429
	v_mfma_f32_16x16x32_fp8_fp8 v[220:223], a[164:165], v[168:169], v[220:223]// 000000006780: D3F300DC 0F7351A4
	v_mfma_f32_16x16x32_fp8_fp8 v[220:223], a[166:167], v[170:171], v[220:223]// 000000006788: D3F300DC 0F7355A6
	v_mfma_f32_16x16x32_fp8_fp8 v[224:227], a[168:169], v[144:145], v[224:227]// 000000006790: D3F300E0 0F8321A8
	v_mfma_f32_16x16x32_fp8_fp8 v[224:227], a[170:171], v[146:147], v[224:227]// 000000006798: D3F300E0 0F8325AA
	buffer_load_dwordx4 a[72:75], v42, s[12:15], 0 offen       // 0000000067A0: E05C1000 8083482A
	v_mfma_f32_16x16x32_fp8_fp8 v[228:231], a[168:169], v[168:169], v[228:231]// 0000000067A8: D3F300E4 0F9351A8
	v_mfma_f32_16x16x32_fp8_fp8 v[228:231], a[170:171], v[170:171], v[228:231]// 0000000067B0: D3F300E4 0F9355AA
	v_mfma_f32_16x16x32_fp8_fp8 v[232:235], a[172:173], v[144:145], v[232:235]// 0000000067B8: D3F300E8 0FA321AC
	v_mfma_f32_16x16x32_fp8_fp8 v[232:235], a[174:175], v[146:147], v[232:235]// 0000000067C0: D3F300E8 0FA325AE
	buffer_load_dwordx4 a[76:79], v43, s[12:15], 0 offen       // 0000000067C8: E05C1000 80834C2B
	s_add_u32 s12, s78, s12                                    // 0000000067D0: 800C0C4E
	s_addc_u32 s13, 0, s13                                     // 0000000067D4: 820D0D80
	v_mfma_f32_16x16x32_fp8_fp8 v[236:239], a[172:173], v[168:169], v[236:239]// 0000000067D8: D3F300EC 0FB351AC
	v_mfma_f32_16x16x32_fp8_fp8 v[236:239], a[174:175], v[170:171], v[236:239]// 0000000067E0: D3F300EC 0FB355AE
	s_waitcnt vmcnt(36)                                        // 0000000067E8: BF8C8F74
	v_mfma_f32_16x16x32_fp8_fp8 v[208:211], a[176:177], v[148:149], v[208:211]// 0000000067EC: D3F300D0 0F4329B0
	v_mfma_f32_16x16x32_fp8_fp8 v[208:211], a[178:179], v[150:151], v[208:211]// 0000000067F4: D3F300D0 0F432DB2
	buffer_load_dwordx4 a[80:83], v40, s[12:15], 0 offen       // 0000000067FC: E05C1000 80835028
	v_mfma_f32_16x16x32_fp8_fp8 v[212:215], a[176:177], v[172:173], v[212:215]// 000000006804: D3F300D4 0F5359B0
	v_mfma_f32_16x16x32_fp8_fp8 v[212:215], a[178:179], v[174:175], v[212:215]// 00000000680C: D3F300D4 0F535DB2
	buffer_load_dword v12, v5, s[16:19], 0 offen               // 000000006814: E0501000 80040C05
	v_mfma_f32_16x16x32_fp8_fp8 v[216:219], a[180:181], v[148:149], v[216:219]// 00000000681C: D3F300D8 0F6329B4
	v_mfma_f32_16x16x32_fp8_fp8 v[216:219], a[182:183], v[150:151], v[216:219]// 000000006824: D3F300D8 0F632DB6
	buffer_load_dwordx4 a[84:87], v41, s[12:15], 0 offen       // 00000000682C: E05C1000 80835429
	v_mfma_f32_16x16x32_fp8_fp8 v[220:223], a[180:181], v[172:173], v[220:223]// 000000006834: D3F300DC 0F7359B4
	v_mfma_f32_16x16x32_fp8_fp8 v[220:223], a[182:183], v[174:175], v[220:223]// 00000000683C: D3F300DC 0F735DB6
	v_mfma_f32_16x16x32_fp8_fp8 v[224:227], a[184:185], v[148:149], v[224:227]// 000000006844: D3F300E0 0F8329B8
	v_mfma_f32_16x16x32_fp8_fp8 v[224:227], a[186:187], v[150:151], v[224:227]// 00000000684C: D3F300E0 0F832DBA
	buffer_load_dwordx4 a[88:91], v42, s[12:15], 0 offen       // 000000006854: E05C1000 8083582A
	v_mfma_f32_16x16x32_fp8_fp8 v[228:231], a[184:185], v[172:173], v[228:231]// 00000000685C: D3F300E4 0F9359B8
	v_mfma_f32_16x16x32_fp8_fp8 v[228:231], a[186:187], v[174:175], v[228:231]// 000000006864: D3F300E4 0F935DBA
	v_mfma_f32_16x16x32_fp8_fp8 v[232:235], a[188:189], v[148:149], v[232:235]// 00000000686C: D3F300E8 0FA329BC
	v_mfma_f32_16x16x32_fp8_fp8 v[232:235], a[190:191], v[150:151], v[232:235]// 000000006874: D3F300E8 0FA32DBE
	buffer_load_dwordx4 a[92:95], v43, s[12:15], 0 offen       // 00000000687C: E05C1000 80835C2B
	v_mfma_f32_16x16x32_fp8_fp8 v[236:239], a[188:189], v[172:173], v[236:239]// 000000006884: D3F300EC 0FB359BC
	v_mfma_f32_16x16x32_fp8_fp8 v[236:239], a[190:191], v[174:175], v[236:239]// 00000000688C: D3F300EC 0FB35DBE
	s_add_u32 s60, 0x200, s80                                  // 000000006894: 803C50FF 00000200
	s_cmp_lt_u32 s60, s81                                      // 00000000689C: BF0A513C
	s_cselect_b32 s56, s56, 0                                  // 0000000068A0: 85388038
	s_cselect_b32 s78, s78, 0                                  // 0000000068A4: 854E804E
	s_cselect_b32 s79, s79, 0                                  // 0000000068A8: 854F804F
	s_add_u32 s12, s56, s12                                    // 0000000068AC: 800C0C38
	s_addc_u32 s13, 0, s13                                     // 0000000068B0: 820D0D80
	s_add_u32 s16, s79, s16                                    // 0000000068B4: 8010104F
	s_addc_u32 s17, 0, s17                                     // 0000000068B8: 82111180
	v_mul_f32_e32 v208, v24, v208                              // 0000000068BC: 0BA1A118
	v_mul_f32_e32 v209, v24, v209                              // 0000000068C0: 0BA3A318
	v_mul_f32_e32 v210, v24, v210                              // 0000000068C4: 0BA5A518
	v_mul_f32_e32 v211, v24, v211                              // 0000000068C8: 0BA7A718
	v_mul_f32_dpp v208, v13, v208 row_newbcast:0 row_mask:0xf bank_mask:0xf// 0000000068CC: 0BA1A0FA FF01500D
	v_mul_f32_dpp v209, v13, v209 row_newbcast:1 row_mask:0xf bank_mask:0xf// 0000000068D4: 0BA3A2FA FF01510D
	v_mul_f32_dpp v210, v13, v210 row_newbcast:2 row_mask:0xf bank_mask:0xf// 0000000068DC: 0BA5A4FA FF01520D
	v_mul_f32_dpp v211, v13, v211 row_newbcast:3 row_mask:0xf bank_mask:0xf// 0000000068E4: 0BA7A6FA FF01530D
	v_mul_f32_e32 v208, v20, v208                              // 0000000068EC: 0BA1A114
	v_mul_f32_e32 v209, v20, v209                              // 0000000068F0: 0BA3A314
	v_mul_f32_e32 v210, v20, v210                              // 0000000068F4: 0BA5A514
	v_mul_f32_e32 v211, v20, v211                              // 0000000068F8: 0BA7A714
	v_mul_f32_e32 v212, v25, v212                              // 0000000068FC: 0BA9A919
	v_mul_f32_e32 v213, v25, v213                              // 000000006900: 0BABAB19
	v_mul_f32_e32 v214, v25, v214                              // 000000006904: 0BADAD19
	v_mul_f32_e32 v215, v25, v215                              // 000000006908: 0BAFAF19
	v_mul_f32_dpp v212, v13, v212 row_newbcast:0 row_mask:0xf bank_mask:0xf// 00000000690C: 0BA9A8FA FF01500D
	v_mul_f32_dpp v213, v13, v213 row_newbcast:1 row_mask:0xf bank_mask:0xf// 000000006914: 0BABAAFA FF01510D
	v_mul_f32_dpp v214, v13, v214 row_newbcast:2 row_mask:0xf bank_mask:0xf// 00000000691C: 0BADACFA FF01520D
	v_mul_f32_dpp v215, v13, v215 row_newbcast:3 row_mask:0xf bank_mask:0xf// 000000006924: 0BAFAEFA FF01530D
	v_mul_f32_e32 v212, v21, v212                              // 00000000692C: 0BA9A915
	v_mul_f32_e32 v213, v21, v213                              // 000000006930: 0BABAB15
	v_mul_f32_e32 v214, v21, v214                              // 000000006934: 0BADAD15
	v_mul_f32_e32 v215, v21, v215                              // 000000006938: 0BAFAF15
	v_mul_f32_e32 v216, v24, v216                              // 00000000693C: 0BB1B118
	v_mul_f32_e32 v217, v24, v217                              // 000000006940: 0BB3B318
	v_mul_f32_e32 v218, v24, v218                              // 000000006944: 0BB5B518
	v_mul_f32_e32 v219, v24, v219                              // 000000006948: 0BB7B718
	v_mul_f32_dpp v216, v13, v216 row_newbcast:4 row_mask:0xf bank_mask:0xf// 00000000694C: 0BB1B0FA FF01540D
	v_mul_f32_dpp v217, v13, v217 row_newbcast:5 row_mask:0xf bank_mask:0xf// 000000006954: 0BB3B2FA FF01550D
	v_mul_f32_dpp v218, v13, v218 row_newbcast:6 row_mask:0xf bank_mask:0xf// 00000000695C: 0BB5B4FA FF01560D
	v_mul_f32_dpp v219, v13, v219 row_newbcast:7 row_mask:0xf bank_mask:0xf// 000000006964: 0BB7B6FA FF01570D
	v_mul_f32_e32 v216, v20, v216                              // 00000000696C: 0BB1B114
	v_mul_f32_e32 v217, v20, v217                              // 000000006970: 0BB3B314
	v_mul_f32_e32 v218, v20, v218                              // 000000006974: 0BB5B514
	v_mul_f32_e32 v219, v20, v219                              // 000000006978: 0BB7B714
	v_mul_f32_e32 v220, v25, v220                              // 00000000697C: 0BB9B919
	v_mul_f32_e32 v221, v25, v221                              // 000000006980: 0BBBBB19
	v_mul_f32_e32 v222, v25, v222                              // 000000006984: 0BBDBD19
	v_mul_f32_e32 v223, v25, v223                              // 000000006988: 0BBFBF19
	v_mul_f32_dpp v220, v13, v220 row_newbcast:4 row_mask:0xf bank_mask:0xf// 00000000698C: 0BB9B8FA FF01540D
	v_mul_f32_dpp v221, v13, v221 row_newbcast:5 row_mask:0xf bank_mask:0xf// 000000006994: 0BBBBAFA FF01550D
	v_mul_f32_dpp v222, v13, v222 row_newbcast:6 row_mask:0xf bank_mask:0xf// 00000000699C: 0BBDBCFA FF01560D
	v_mul_f32_dpp v223, v13, v223 row_newbcast:7 row_mask:0xf bank_mask:0xf// 0000000069A4: 0BBFBEFA FF01570D
	v_mul_f32_e32 v220, v21, v220                              // 0000000069AC: 0BB9B915
	v_mul_f32_e32 v221, v21, v221                              // 0000000069B0: 0BBBBB15
	v_mul_f32_e32 v222, v21, v222                              // 0000000069B4: 0BBDBD15
	v_mul_f32_e32 v223, v21, v223                              // 0000000069B8: 0BBFBF15
	v_mul_f32_e32 v224, v24, v224                              // 0000000069BC: 0BC1C118
	v_mul_f32_e32 v225, v24, v225                              // 0000000069C0: 0BC3C318
	v_mul_f32_e32 v226, v24, v226                              // 0000000069C4: 0BC5C518
	v_mul_f32_e32 v227, v24, v227                              // 0000000069C8: 0BC7C718
	v_mul_f32_dpp v224, v13, v224 row_newbcast:8 row_mask:0xf bank_mask:0xf// 0000000069CC: 0BC1C0FA FF01580D
	v_mul_f32_dpp v225, v13, v225 row_newbcast:9 row_mask:0xf bank_mask:0xf// 0000000069D4: 0BC3C2FA FF01590D
	v_mul_f32_dpp v226, v13, v226 row_newbcast:10 row_mask:0xf bank_mask:0xf// 0000000069DC: 0BC5C4FA FF015A0D
	v_mul_f32_dpp v227, v13, v227 row_newbcast:11 row_mask:0xf bank_mask:0xf// 0000000069E4: 0BC7C6FA FF015B0D
	v_mul_f32_e32 v224, v20, v224                              // 0000000069EC: 0BC1C114
	v_mul_f32_e32 v225, v20, v225                              // 0000000069F0: 0BC3C314
	v_mul_f32_e32 v226, v20, v226                              // 0000000069F4: 0BC5C514
	v_mul_f32_e32 v227, v20, v227                              // 0000000069F8: 0BC7C714
	v_mul_f32_e32 v228, v25, v228                              // 0000000069FC: 0BC9C919
	v_mul_f32_e32 v229, v25, v229                              // 000000006A00: 0BCBCB19
	v_mul_f32_e32 v230, v25, v230                              // 000000006A04: 0BCDCD19
	v_mul_f32_e32 v231, v25, v231                              // 000000006A08: 0BCFCF19
	v_mul_f32_dpp v228, v13, v228 row_newbcast:8 row_mask:0xf bank_mask:0xf// 000000006A0C: 0BC9C8FA FF01580D
	v_mul_f32_dpp v229, v13, v229 row_newbcast:9 row_mask:0xf bank_mask:0xf// 000000006A14: 0BCBCAFA FF01590D
	v_mul_f32_dpp v230, v13, v230 row_newbcast:10 row_mask:0xf bank_mask:0xf// 000000006A1C: 0BCDCCFA FF015A0D
	v_mul_f32_dpp v231, v13, v231 row_newbcast:11 row_mask:0xf bank_mask:0xf// 000000006A24: 0BCFCEFA FF015B0D
	v_mul_f32_e32 v228, v21, v228                              // 000000006A2C: 0BC9C915
	v_mul_f32_e32 v229, v21, v229                              // 000000006A30: 0BCBCB15
	v_mul_f32_e32 v230, v21, v230                              // 000000006A34: 0BCDCD15
	v_mul_f32_e32 v231, v21, v231                              // 000000006A38: 0BCFCF15
	v_mul_f32_e32 v232, v24, v232                              // 000000006A3C: 0BD1D118
	v_mul_f32_e32 v233, v24, v233                              // 000000006A40: 0BD3D318
	v_mul_f32_e32 v234, v24, v234                              // 000000006A44: 0BD5D518
	v_mul_f32_e32 v235, v24, v235                              // 000000006A48: 0BD7D718
	v_mul_f32_dpp v232, v13, v232 row_newbcast:12 row_mask:0xf bank_mask:0xf// 000000006A4C: 0BD1D0FA FF015C0D
	v_mul_f32_dpp v233, v13, v233 row_newbcast:13 row_mask:0xf bank_mask:0xf// 000000006A54: 0BD3D2FA FF015D0D
	v_mul_f32_dpp v234, v13, v234 row_newbcast:14 row_mask:0xf bank_mask:0xf// 000000006A5C: 0BD5D4FA FF015E0D
	v_mul_f32_dpp v235, v13, v235 row_newbcast:15 row_mask:0xf bank_mask:0xf// 000000006A64: 0BD7D6FA FF015F0D
	v_mul_f32_e32 v232, v20, v232                              // 000000006A6C: 0BD1D114
	v_mul_f32_e32 v233, v20, v233                              // 000000006A70: 0BD3D314
	v_mul_f32_e32 v234, v20, v234                              // 000000006A74: 0BD5D514
	v_mul_f32_e32 v235, v20, v235                              // 000000006A78: 0BD7D714
	v_mul_f32_e32 v236, v25, v236                              // 000000006A7C: 0BD9D919
	v_mul_f32_e32 v237, v25, v237                              // 000000006A80: 0BDBDB19
	v_mul_f32_e32 v238, v25, v238                              // 000000006A84: 0BDDDD19
	v_mul_f32_e32 v239, v25, v239                              // 000000006A88: 0BDFDF19
	v_mul_f32_dpp v236, v13, v236 row_newbcast:12 row_mask:0xf bank_mask:0xf// 000000006A8C: 0BD9D8FA FF015C0D
	v_mul_f32_dpp v237, v13, v237 row_newbcast:13 row_mask:0xf bank_mask:0xf// 000000006A94: 0BDBDAFA FF015D0D
	v_mul_f32_dpp v238, v13, v238 row_newbcast:14 row_mask:0xf bank_mask:0xf// 000000006A9C: 0BDDDCFA FF015E0D
	v_mul_f32_dpp v239, v13, v239 row_newbcast:15 row_mask:0xf bank_mask:0xf// 000000006AA4: 0BDFDEFA FF015F0D
	v_mul_f32_e32 v236, v21, v236                              // 000000006AAC: 0BD9D915
	v_mul_f32_e32 v237, v21, v237                              // 000000006AB0: 0BDBDB15
	v_mul_f32_e32 v238, v21, v238                              // 000000006AB4: 0BDDDD15
	v_mul_f32_e32 v239, v21, v239                              // 000000006AB8: 0BDFDF15
	v_cvt_pkrtz_f16_f32 v208, v208, v209                       // 000000006ABC: D29600D0 0003A3D0
	v_cvt_pkrtz_f16_f32 v209, v210, v211                       // 000000006AC4: D29600D1 0003A7D2
	v_cvt_pkrtz_f16_f32 v210, v212, v213                       // 000000006ACC: D29600D2 0003ABD4
	v_cvt_pkrtz_f16_f32 v211, v214, v215                       // 000000006AD4: D29600D3 0003AFD6
	v_cvt_pkrtz_f16_f32 v212, v216, v217                       // 000000006ADC: D29600D4 0003B3D8
	v_cvt_pkrtz_f16_f32 v213, v218, v219                       // 000000006AE4: D29600D5 0003B7DA
	v_cvt_pkrtz_f16_f32 v214, v220, v221                       // 000000006AEC: D29600D6 0003BBDC
	v_cvt_pkrtz_f16_f32 v215, v222, v223                       // 000000006AF4: D29600D7 0003BFDE
	v_cvt_pkrtz_f16_f32 v216, v224, v225                       // 000000006AFC: D29600D8 0003C3E0
	v_cvt_pkrtz_f16_f32 v217, v226, v227                       // 000000006B04: D29600D9 0003C7E2
	v_cvt_pkrtz_f16_f32 v218, v228, v229                       // 000000006B0C: D29600DA 0003CBE4
	v_cvt_pkrtz_f16_f32 v219, v230, v231                       // 000000006B14: D29600DB 0003CFE6
	v_cvt_pkrtz_f16_f32 v220, v232, v233                       // 000000006B1C: D29600DC 0003D3E8
	v_cvt_pkrtz_f16_f32 v221, v234, v235                       // 000000006B24: D29600DD 0003D7EA
	v_cvt_pkrtz_f16_f32 v222, v236, v237                       // 000000006B2C: D29600DE 0003DBEC
	v_cvt_pkrtz_f16_f32 v223, v238, v239                       // 000000006B34: D29600DF 0003DFEE
	ds_write_b64 v3, v[208:209] offset:30976                   // 000000006B3C: D89A7900 0000D003
	ds_write_b64 v3, v[210:211] offset:39680                   // 000000006B44: D89A9B00 0000D203
	ds_write_b64 v3, v[212:213] offset:33152                   // 000000006B4C: D89A8180 0000D403
	ds_write_b64 v3, v[214:215] offset:41856                   // 000000006B54: D89AA380 0000D603
	ds_write_b64 v3, v[216:217] offset:35328                   // 000000006B5C: D89A8A00 0000D803
	ds_write_b64 v3, v[218:219] offset:44032                   // 000000006B64: D89AAC00 0000DA03
	ds_write_b64 v3, v[220:221] offset:37504                   // 000000006B6C: D89A9280 0000DC03
	ds_write_b64 v3, v[222:223] offset:46208                   // 000000006B74: D89AB480 0000DE03
	s_waitcnt lgkmcnt(0)                                       // 000000006B7C: BF8CC07F
	s_barrier                                                  // 000000006B80: BF8A0000
	ds_read_b32 v64, v4 offset:30976                           // 000000006B84: D86C7900 40000004
	ds_read_b32 v65, v4 offset:35328                           // 000000006B8C: D86C8A00 41000004
	ds_read_b32 v66, v4 offset:31008                           // 000000006B94: D86C7920 42000004
	ds_read_b32 v67, v4 offset:35360                           // 000000006B9C: D86C8A20 43000004
	ds_read_b32 v68, v4 offset:31040                           // 000000006BA4: D86C7940 44000004
	ds_read_b32 v69, v4 offset:35392                           // 000000006BAC: D86C8A40 45000004
	ds_read_b32 v70, v4 offset:31072                           // 000000006BB4: D86C7960 46000004
	ds_read_b32 v71, v4 offset:35424                           // 000000006BBC: D86C8A60 47000004
	ds_read_b32 v72, v4 offset:39680                           // 000000006BC4: D86C9B00 48000004
	ds_read_b32 v73, v4 offset:44032                           // 000000006BCC: D86CAC00 49000004
	ds_read_b32 v74, v4 offset:39712                           // 000000006BD4: D86C9B20 4A000004
	ds_read_b32 v75, v4 offset:44064                           // 000000006BDC: D86CAC20 4B000004
	ds_read_b32 v76, v4 offset:39744                           // 000000006BE4: D86C9B40 4C000004
	ds_read_b32 v77, v4 offset:44096                           // 000000006BEC: D86CAC40 4D000004
	ds_read_b32 v78, v4 offset:39776                           // 000000006BF4: D86C9B60 4E000004
	ds_read_b32 v79, v4 offset:44128                           // 000000006BFC: D86CAC60 4F000004
	s_waitcnt lgkmcnt(0)                                       // 000000006C04: BF8CC07F
	s_mov_b64 exec, s[20:21]                                   // 000000006C08: BEFE0114
	global_atomic_pk_add_f16 v80, v64, s[8:9]                  // 000000006C0C: DD388000 00084050
	s_mov_b64 exec, s[36:37]                                   // 000000006C14: BEFE0124
	s_mov_b64 exec, s[20:21]                                   // 000000006C18: BEFE0114
	global_atomic_pk_add_f16 v80, v65, s[8:9] offset:256       // 000000006C1C: DD388100 00084150
	s_mov_b64 exec, s[36:37]                                   // 000000006C24: BEFE0124
	s_mov_b64 exec, s[22:23]                                   // 000000006C28: BEFE0116
	global_atomic_pk_add_f16 v82, v66, s[8:9]                  // 000000006C2C: DD388000 00084252
	s_mov_b64 exec, s[36:37]                                   // 000000006C34: BEFE0124
	s_mov_b64 exec, s[22:23]                                   // 000000006C38: BEFE0116
	global_atomic_pk_add_f16 v82, v67, s[8:9] offset:256       // 000000006C3C: DD388100 00084352
	s_mov_b64 exec, s[36:37]                                   // 000000006C44: BEFE0124
	s_mov_b64 exec, s[24:25]                                   // 000000006C48: BEFE0118
	global_atomic_pk_add_f16 v84, v68, s[8:9]                  // 000000006C4C: DD388000 00084454
	s_mov_b64 exec, s[36:37]                                   // 000000006C54: BEFE0124
	s_mov_b64 exec, s[24:25]                                   // 000000006C58: BEFE0118
	global_atomic_pk_add_f16 v84, v69, s[8:9] offset:256       // 000000006C5C: DD388100 00084554
	s_mov_b64 exec, s[36:37]                                   // 000000006C64: BEFE0124
	s_mov_b64 exec, s[26:27]                                   // 000000006C68: BEFE011A
	global_atomic_pk_add_f16 v86, v70, s[8:9]                  // 000000006C6C: DD388000 00084656
	s_mov_b64 exec, s[36:37]                                   // 000000006C74: BEFE0124
	s_mov_b64 exec, s[26:27]                                   // 000000006C78: BEFE011A
	global_atomic_pk_add_f16 v86, v71, s[8:9] offset:256       // 000000006C7C: DD388100 00084756
	s_mov_b64 exec, s[36:37]                                   // 000000006C84: BEFE0124
	s_mov_b64 exec, s[28:29]                                   // 000000006C88: BEFE011C
	global_atomic_pk_add_f16 v88, v72, s[8:9]                  // 000000006C8C: DD388000 00084858
	s_mov_b64 exec, s[36:37]                                   // 000000006C94: BEFE0124
	s_mov_b64 exec, s[28:29]                                   // 000000006C98: BEFE011C
	global_atomic_pk_add_f16 v88, v73, s[8:9] offset:256       // 000000006C9C: DD388100 00084958
	s_mov_b64 exec, s[36:37]                                   // 000000006CA4: BEFE0124
	s_mov_b64 exec, s[30:31]                                   // 000000006CA8: BEFE011E
	global_atomic_pk_add_f16 v90, v74, s[8:9]                  // 000000006CAC: DD388000 00084A5A
	s_mov_b64 exec, s[36:37]                                   // 000000006CB4: BEFE0124
	s_mov_b64 exec, s[30:31]                                   // 000000006CB8: BEFE011E
	global_atomic_pk_add_f16 v90, v75, s[8:9] offset:256       // 000000006CBC: DD388100 00084B5A
	s_mov_b64 exec, s[36:37]                                   // 000000006CC4: BEFE0124
	s_mov_b64 exec, s[32:33]                                   // 000000006CC8: BEFE0120
	global_atomic_pk_add_f16 v92, v76, s[8:9]                  // 000000006CCC: DD388000 00084C5C
	s_mov_b64 exec, s[36:37]                                   // 000000006CD4: BEFE0124
	s_mov_b64 exec, s[32:33]                                   // 000000006CD8: BEFE0120
	global_atomic_pk_add_f16 v92, v77, s[8:9] offset:256       // 000000006CDC: DD388100 00084D5C
	s_mov_b64 exec, s[36:37]                                   // 000000006CE4: BEFE0124
	s_mov_b64 exec, s[34:35]                                   // 000000006CE8: BEFE0122
	global_atomic_pk_add_f16 v94, v78, s[8:9]                  // 000000006CEC: DD388000 00084E5E
	s_mov_b64 exec, s[36:37]                                   // 000000006CF4: BEFE0124
	s_mov_b64 exec, s[34:35]                                   // 000000006CF8: BEFE0122
	global_atomic_pk_add_f16 v94, v79, s[8:9] offset:256       // 000000006CFC: DD388100 00084F5E
	s_mov_b64 exec, s[36:37]                                   // 000000006D04: BEFE0124
	s_add_u32 s8, s59, s8                                      // 000000006D08: 8008083B
	s_addc_u32 s9, 0, s9                                       // 000000006D0C: 82090980
	s_addk_i32 s80, 0x100                                      // 000000006D10: B7500100
	s_cmp_lt_i32 s80, s81                                      // 000000006D14: BF045150
	s_cbranch_scc0 label_0FC8                                  // 000000006D18: BF840001
	s_branch label_0B7D                                        // 000000006D1C: BF82FBB5

0000000000006d20 <label_0FC8>:
	s_nop 0                                                    // 000000006D20: BF800000
	s_nop 0                                                    // 000000006D24: BF800000
	s_branch label_1CCF                                        // 000000006D28: BF820D04

0000000000006d2c <label_0FCB>:
	s_waitcnt vmcnt(16) lgkmcnt(0)                             // 000000006D2C: BF8C4070
	s_barrier                                                  // 000000006D30: BF8A0000
	v_mfma_f32_16x16x32_fp8_fp8 v[128:131], a[0:1], v[176:177], v[128:131]// 000000006D34: D3F30080 0E036100
	buffer_load_dwordx4 a[96:99], v34, s[92:95], 0 offen       // 000000006D3C: E05C1000 80976022
	v_mfma_f32_16x16x32_fp8_fp8 v[128:131], a[2:3], v[178:179], v[128:131]// 000000006D44: D3F30080 0E036502
	v_mfma_f32_16x16x32_fp8_fp8 v[128:131], a[4:5], v[180:181], v[128:131]// 000000006D4C: D3F30080 0E036904
	buffer_load_dword v26, s[20:23], 0 offen lds               // 000000006D54: E0511000 8005001A
	s_add_u32 m0, 0x100, s51                                   // 000000006D5C: 807C33FF 00000100
	v_mfma_f32_16x16x32_fp8_fp8 v[128:131], a[6:7], v[182:183], v[128:131]// 000000006D64: D3F30080 0E036D06
	v_mfma_f32_16x16x32_fp8_fp8 v[128:131], a[8:9], v[184:185], v[128:131]// 000000006D6C: D3F30080 0E037108
	buffer_load_dwordx4 a[100:103], v34, s[92:95], 0 offen offset:1024// 000000006D74: E05C1400 80976422
	v_mfma_f32_16x16x32_fp8_fp8 v[128:131], a[10:11], v[186:187], v[128:131]// 000000006D7C: D3F30080 0E03750A
	v_mfma_f32_16x16x32_fp8_fp8 v[128:131], a[12:13], v[188:189], v[128:131]// 000000006D84: D3F30080 0E03790C
	buffer_load_dword v27, s[20:23], 0 offen lds               // 000000006D8C: E0511000 8005001B
	s_add_u32 m0, 0x200, s51                                   // 000000006D94: 807C33FF 00000200
	v_mfma_f32_16x16x32_fp8_fp8 v[128:131], a[14:15], v[190:191], v[128:131]// 000000006D9C: D3F30080 0E037D0E
	v_mfma_f32_16x16x32_fp8_fp8 v[132:135], a[0:1], v[192:193], v[132:135]// 000000006DA4: D3F30084 0E138100
	buffer_load_dwordx4 a[104:107], v34, s[92:95], 0 offen offset:2048// 000000006DAC: E05C1800 80976822
	v_mfma_f32_16x16x32_fp8_fp8 v[132:135], a[2:3], v[194:195], v[132:135]// 000000006DB4: D3F30084 0E138502
	v_mfma_f32_16x16x32_fp8_fp8 v[132:135], a[4:5], v[196:197], v[132:135]// 000000006DBC: D3F30084 0E138904
	buffer_load_dword v28, s[20:23], 0 offen lds               // 000000006DC4: E0511000 8005001C
	s_add_u32 m0, 0x300, s51                                   // 000000006DCC: 807C33FF 00000300
	v_mfma_f32_16x16x32_fp8_fp8 v[132:135], a[6:7], v[198:199], v[132:135]// 000000006DD4: D3F30084 0E138D06
	v_mfma_f32_16x16x32_fp8_fp8 v[132:135], a[8:9], v[200:201], v[132:135]// 000000006DDC: D3F30084 0E139108
	buffer_load_dwordx4 a[108:111], v34, s[92:95], 0 offen offset:3072// 000000006DE4: E05C1C00 80976C22
	v_mfma_f32_16x16x32_fp8_fp8 v[132:135], a[10:11], v[202:203], v[132:135]// 000000006DEC: D3F30084 0E13950A
	v_mfma_f32_16x16x32_fp8_fp8 v[132:135], a[12:13], v[204:205], v[132:135]// 000000006DF4: D3F30084 0E13990C
	buffer_load_dword v29, s[20:23], 0 offen lds               // 000000006DFC: E0511000 8005001D
	s_add_u32 m0, 0x400, s51                                   // 000000006E04: 807C33FF 00000400
	v_mfma_f32_16x16x32_fp8_fp8 v[132:135], a[14:15], v[206:207], v[132:135]// 000000006E0C: D3F30084 0E139D0E
	v_mfma_f32_16x16x32_fp8_fp8 v[136:139], a[16:17], v[176:177], v[136:139]// 000000006E14: D3F30088 0E236110
	buffer_load_dwordx4 a[112:115], v35, s[92:95], 0 offen     // 000000006E1C: E05C1000 80977023
	v_mfma_f32_16x16x32_fp8_fp8 v[136:139], a[18:19], v[178:179], v[136:139]// 000000006E24: D3F30088 0E236512
	v_mfma_f32_16x16x32_fp8_fp8 v[136:139], a[20:21], v[180:181], v[136:139]// 000000006E2C: D3F30088 0E236914
	buffer_load_dword v30, s[20:23], 0 offen lds               // 000000006E34: E0511000 8005001E
	s_add_u32 m0, 0x500, s51                                   // 000000006E3C: 807C33FF 00000500
	v_mfma_f32_16x16x32_fp8_fp8 v[136:139], a[22:23], v[182:183], v[136:139]// 000000006E44: D3F30088 0E236D16
	v_mfma_f32_16x16x32_fp8_fp8 v[136:139], a[24:25], v[184:185], v[136:139]// 000000006E4C: D3F30088 0E237118
	buffer_load_dwordx4 a[116:119], v35, s[92:95], 0 offen offset:1024// 000000006E54: E05C1400 80977423
	v_mfma_f32_16x16x32_fp8_fp8 v[136:139], a[26:27], v[186:187], v[136:139]// 000000006E5C: D3F30088 0E23751A
	v_mfma_f32_16x16x32_fp8_fp8 v[136:139], a[28:29], v[188:189], v[136:139]// 000000006E64: D3F30088 0E23791C
	buffer_load_dword v31, s[20:23], 0 offen lds               // 000000006E6C: E0511000 8005001F
	s_add_u32 m0, 0x600, s51                                   // 000000006E74: 807C33FF 00000600
	v_mfma_f32_16x16x32_fp8_fp8 v[136:139], a[30:31], v[190:191], v[136:139]// 000000006E7C: D3F30088 0E237D1E
	v_mfma_f32_16x16x32_fp8_fp8 v[140:143], a[16:17], v[192:193], v[140:143]// 000000006E84: D3F3008C 0E338110
	buffer_load_dwordx4 a[120:123], v35, s[92:95], 0 offen offset:2048// 000000006E8C: E05C1800 80977823
	v_mfma_f32_16x16x32_fp8_fp8 v[140:143], a[18:19], v[194:195], v[140:143]// 000000006E94: D3F3008C 0E338512
	v_mfma_f32_16x16x32_fp8_fp8 v[140:143], a[20:21], v[196:197], v[140:143]// 000000006E9C: D3F3008C 0E338914
	buffer_load_dword v32, s[20:23], 0 offen lds               // 000000006EA4: E0511000 80050020
	s_add_u32 m0, 0x700, s51                                   // 000000006EAC: 807C33FF 00000700
	v_mfma_f32_16x16x32_fp8_fp8 v[140:143], a[22:23], v[198:199], v[140:143]// 000000006EB4: D3F3008C 0E338D16
	v_mfma_f32_16x16x32_fp8_fp8 v[140:143], a[24:25], v[200:201], v[140:143]// 000000006EBC: D3F3008C 0E339118
	buffer_load_dwordx4 a[124:127], v35, s[92:95], 0 offen offset:3072// 000000006EC4: E05C1C00 80977C23
	v_mfma_f32_16x16x32_fp8_fp8 v[140:143], a[26:27], v[202:203], v[140:143]// 000000006ECC: D3F3008C 0E33951A
	v_mfma_f32_16x16x32_fp8_fp8 v[140:143], a[28:29], v[204:205], v[140:143]// 000000006ED4: D3F3008C 0E33991C
	buffer_load_dword v33, s[20:23], 0 offen lds               // 000000006EDC: E0511000 80050021
	s_add_u32 m0, 0, s50                                       // 000000006EE4: 807C3280
	v_mfma_f32_16x16x32_fp8_fp8 v[140:143], a[30:31], v[206:207], v[140:143]// 000000006EE8: D3F3008C 0E339D1E
	s_waitcnt vmcnt(28)                                        // 000000006EF0: BF8C4F7C
	v_mfma_f32_16x16x32_fp8_fp8 v[144:147], a[32:33], v[176:177], v[144:147]// 000000006EF4: D3F30090 0E436120
	buffer_load_dwordx4 a[128:131], v36, s[92:95], 0 offen     // 000000006EFC: E05C1000 80978024
	v_mfma_f32_16x16x32_fp8_fp8 v[144:147], a[34:35], v[178:179], v[144:147]// 000000006F04: D3F30090 0E436522
	v_mfma_f32_16x16x32_fp8_fp8 v[144:147], a[36:37], v[180:181], v[144:147]// 000000006F0C: D3F30090 0E436924
	v_mfma_f32_16x16x32_fp8_fp8 v[144:147], a[38:39], v[182:183], v[144:147]// 000000006F14: D3F30090 0E436D26
	v_mfma_f32_16x16x32_fp8_fp8 v[144:147], a[40:41], v[184:185], v[144:147]// 000000006F1C: D3F30090 0E437128
	buffer_load_dwordx4 a[132:135], v36, s[92:95], 0 offen offset:1024// 000000006F24: E05C1400 80978424
	v_mfma_f32_16x16x32_fp8_fp8 v[144:147], a[42:43], v[186:187], v[144:147]// 000000006F2C: D3F30090 0E43752A
	v_mfma_f32_16x16x32_fp8_fp8 v[144:147], a[44:45], v[188:189], v[144:147]// 000000006F34: D3F30090 0E43792C
	v_mfma_f32_16x16x32_fp8_fp8 v[144:147], a[46:47], v[190:191], v[144:147]// 000000006F3C: D3F30090 0E437D2E
	v_mfma_f32_16x16x32_fp8_fp8 v[148:151], a[32:33], v[192:193], v[148:151]// 000000006F44: D3F30094 0E538120
	buffer_load_dwordx4 a[136:139], v36, s[92:95], 0 offen offset:2048// 000000006F4C: E05C1800 80978824
	v_mfma_f32_16x16x32_fp8_fp8 v[148:151], a[34:35], v[194:195], v[148:151]// 000000006F54: D3F30094 0E538522
	v_mfma_f32_16x16x32_fp8_fp8 v[148:151], a[36:37], v[196:197], v[148:151]// 000000006F5C: D3F30094 0E538924
	v_mfma_f32_16x16x32_fp8_fp8 v[148:151], a[38:39], v[198:199], v[148:151]// 000000006F64: D3F30094 0E538D26
	v_mfma_f32_16x16x32_fp8_fp8 v[148:151], a[40:41], v[200:201], v[148:151]// 000000006F6C: D3F30094 0E539128
	buffer_load_dwordx4 a[140:143], v36, s[92:95], 0 offen offset:3072// 000000006F74: E05C1C00 80978C24
	v_mfma_f32_16x16x32_fp8_fp8 v[148:151], a[42:43], v[202:203], v[148:151]// 000000006F7C: D3F30094 0E53952A
	v_mfma_f32_16x16x32_fp8_fp8 v[148:151], a[44:45], v[204:205], v[148:151]// 000000006F84: D3F30094 0E53992C
	v_mfma_f32_16x16x32_fp8_fp8 v[148:151], a[46:47], v[206:207], v[148:151]// 000000006F8C: D3F30094 0E539D2E
	s_waitcnt vmcnt(28)                                        // 000000006F94: BF8C4F7C
	v_mfma_f32_16x16x32_fp8_fp8 v[152:155], a[48:49], v[176:177], v[152:155]// 000000006F98: D3F30098 0E636130
	buffer_load_dwordx4 a[144:147], v37, s[92:95], 0 offen     // 000000006FA0: E05C1000 80979025
	v_mfma_f32_16x16x32_fp8_fp8 v[152:155], a[50:51], v[178:179], v[152:155]// 000000006FA8: D3F30098 0E636532
	v_mfma_f32_16x16x32_fp8_fp8 v[152:155], a[52:53], v[180:181], v[152:155]// 000000006FB0: D3F30098 0E636934
	v_mfma_f32_16x16x32_fp8_fp8 v[152:155], a[54:55], v[182:183], v[152:155]// 000000006FB8: D3F30098 0E636D36
	v_mfma_f32_16x16x32_fp8_fp8 v[152:155], a[56:57], v[184:185], v[152:155]// 000000006FC0: D3F30098 0E637138
	buffer_load_dwordx4 a[148:151], v37, s[92:95], 0 offen offset:1024// 000000006FC8: E05C1400 80979425
	v_mfma_f32_16x16x32_fp8_fp8 v[152:155], a[58:59], v[186:187], v[152:155]// 000000006FD0: D3F30098 0E63753A
	v_mfma_f32_16x16x32_fp8_fp8 v[152:155], a[60:61], v[188:189], v[152:155]// 000000006FD8: D3F30098 0E63793C
	v_mfma_f32_16x16x32_fp8_fp8 v[152:155], a[62:63], v[190:191], v[152:155]// 000000006FE0: D3F30098 0E637D3E
	v_mfma_f32_16x16x32_fp8_fp8 v[156:159], a[48:49], v[192:193], v[156:159]// 000000006FE8: D3F3009C 0E738130
	buffer_load_dwordx4 a[152:155], v37, s[92:95], 0 offen offset:2048// 000000006FF0: E05C1800 80979825
	v_mfma_f32_16x16x32_fp8_fp8 v[156:159], a[50:51], v[194:195], v[156:159]// 000000006FF8: D3F3009C 0E738532
	v_mfma_f32_16x16x32_fp8_fp8 v[156:159], a[52:53], v[196:197], v[156:159]// 000000007000: D3F3009C 0E738934
	v_mfma_f32_16x16x32_fp8_fp8 v[156:159], a[54:55], v[198:199], v[156:159]// 000000007008: D3F3009C 0E738D36
	v_mfma_f32_16x16x32_fp8_fp8 v[156:159], a[56:57], v[200:201], v[156:159]// 000000007010: D3F3009C 0E739138
	buffer_load_dwordx4 a[156:159], v37, s[92:95], 0 offen offset:3072// 000000007018: E05C1C00 80979C25
	v_mfma_f32_16x16x32_fp8_fp8 v[156:159], a[58:59], v[202:203], v[156:159]// 000000007020: D3F3009C 0E73953A
	v_mfma_f32_16x16x32_fp8_fp8 v[156:159], a[60:61], v[204:205], v[156:159]// 000000007028: D3F3009C 0E73993C
	v_mfma_f32_16x16x32_fp8_fp8 v[156:159], a[62:63], v[206:207], v[156:159]// 000000007030: D3F3009C 0E739D3E
	s_waitcnt vmcnt(28)                                        // 000000007038: BF8C4F7C
	v_mfma_f32_16x16x32_fp8_fp8 v[160:163], a[64:65], v[176:177], v[160:163]// 00000000703C: D3F300A0 0E836140
	buffer_load_dwordx4 a[160:163], v38, s[92:95], 0 offen     // 000000007044: E05C1000 8097A026
	v_mfma_f32_16x16x32_fp8_fp8 v[160:163], a[66:67], v[178:179], v[160:163]// 00000000704C: D3F300A0 0E836542
	v_mfma_f32_16x16x32_fp8_fp8 v[160:163], a[68:69], v[180:181], v[160:163]// 000000007054: D3F300A0 0E836944
	v_mfma_f32_16x16x32_fp8_fp8 v[160:163], a[70:71], v[182:183], v[160:163]// 00000000705C: D3F300A0 0E836D46
	v_mfma_f32_16x16x32_fp8_fp8 v[160:163], a[72:73], v[184:185], v[160:163]// 000000007064: D3F300A0 0E837148
	buffer_load_dwordx4 a[164:167], v38, s[92:95], 0 offen offset:1024// 00000000706C: E05C1400 8097A426
	v_mfma_f32_16x16x32_fp8_fp8 v[160:163], a[74:75], v[186:187], v[160:163]// 000000007074: D3F300A0 0E83754A
	v_mfma_f32_16x16x32_fp8_fp8 v[160:163], a[76:77], v[188:189], v[160:163]// 00000000707C: D3F300A0 0E83794C
	v_mfma_f32_16x16x32_fp8_fp8 v[160:163], a[78:79], v[190:191], v[160:163]// 000000007084: D3F300A0 0E837D4E
	v_mfma_f32_16x16x32_fp8_fp8 v[164:167], a[64:65], v[192:193], v[164:167]// 00000000708C: D3F300A4 0E938140
	buffer_load_dwordx4 a[168:171], v38, s[92:95], 0 offen offset:2048// 000000007094: E05C1800 8097A826
	v_mfma_f32_16x16x32_fp8_fp8 v[164:167], a[66:67], v[194:195], v[164:167]// 00000000709C: D3F300A4 0E938542
	v_mfma_f32_16x16x32_fp8_fp8 v[164:167], a[68:69], v[196:197], v[164:167]// 0000000070A4: D3F300A4 0E938944
	v_mfma_f32_16x16x32_fp8_fp8 v[164:167], a[70:71], v[198:199], v[164:167]// 0000000070AC: D3F300A4 0E938D46
	v_mfma_f32_16x16x32_fp8_fp8 v[164:167], a[72:73], v[200:201], v[164:167]// 0000000070B4: D3F300A4 0E939148
	buffer_load_dwordx4 a[172:175], v38, s[92:95], 0 offen offset:3072// 0000000070BC: E05C1C00 8097AC26
	v_mfma_f32_16x16x32_fp8_fp8 v[164:167], a[74:75], v[202:203], v[164:167]// 0000000070C4: D3F300A4 0E93954A
	v_mfma_f32_16x16x32_fp8_fp8 v[164:167], a[76:77], v[204:205], v[164:167]// 0000000070CC: D3F300A4 0E93994C
	v_mfma_f32_16x16x32_fp8_fp8 v[164:167], a[78:79], v[206:207], v[164:167]// 0000000070D4: D3F300A4 0E939D4E
	s_waitcnt vmcnt(28)                                        // 0000000070DC: BF8C4F7C
	v_mfma_f32_16x16x32_fp8_fp8 v[168:171], a[80:81], v[176:177], v[168:171]// 0000000070E0: D3F300A8 0EA36150
	buffer_load_dwordx4 a[176:179], v39, s[92:95], 0 offen     // 0000000070E8: E05C1000 8097B027
	v_mfma_f32_16x16x32_fp8_fp8 v[168:171], a[82:83], v[178:179], v[168:171]// 0000000070F0: D3F300A8 0EA36552
	v_mfma_f32_16x16x32_fp8_fp8 v[168:171], a[84:85], v[180:181], v[168:171]// 0000000070F8: D3F300A8 0EA36954
	v_mfma_f32_16x16x32_fp8_fp8 v[168:171], a[86:87], v[182:183], v[168:171]// 000000007100: D3F300A8 0EA36D56
	v_mfma_f32_16x16x32_fp8_fp8 v[168:171], a[88:89], v[184:185], v[168:171]// 000000007108: D3F300A8 0EA37158
	buffer_load_dwordx4 a[180:183], v39, s[92:95], 0 offen offset:1024// 000000007110: E05C1400 8097B427
	v_mfma_f32_16x16x32_fp8_fp8 v[168:171], a[90:91], v[186:187], v[168:171]// 000000007118: D3F300A8 0EA3755A
	v_mfma_f32_16x16x32_fp8_fp8 v[168:171], a[92:93], v[188:189], v[168:171]// 000000007120: D3F300A8 0EA3795C
	v_mfma_f32_16x16x32_fp8_fp8 v[168:171], a[94:95], v[190:191], v[168:171]// 000000007128: D3F300A8 0EA37D5E
	v_mfma_f32_16x16x32_fp8_fp8 v[172:175], a[80:81], v[192:193], v[172:175]// 000000007130: D3F300AC 0EB38150
	buffer_load_dwordx4 a[184:187], v39, s[92:95], 0 offen offset:2048// 000000007138: E05C1800 8097B827
	v_mfma_f32_16x16x32_fp8_fp8 v[172:175], a[82:83], v[194:195], v[172:175]// 000000007140: D3F300AC 0EB38552
	v_mfma_f32_16x16x32_fp8_fp8 v[172:175], a[84:85], v[196:197], v[172:175]// 000000007148: D3F300AC 0EB38954
	v_mfma_f32_16x16x32_fp8_fp8 v[172:175], a[86:87], v[198:199], v[172:175]// 000000007150: D3F300AC 0EB38D56
	v_mfma_f32_16x16x32_fp8_fp8 v[172:175], a[88:89], v[200:201], v[172:175]// 000000007158: D3F300AC 0EB39158
	buffer_load_dwordx4 a[188:191], v39, s[92:95], 0 offen offset:3072// 000000007160: E05C1C00 8097BC27
	v_mfma_f32_16x16x32_fp8_fp8 v[172:175], a[90:91], v[202:203], v[172:175]// 000000007168: D3F300AC 0EB3955A
	v_mfma_f32_16x16x32_fp8_fp8 v[172:175], a[92:93], v[204:205], v[172:175]// 000000007170: D3F300AC 0EB3995C
	v_mfma_f32_16x16x32_fp8_fp8 v[172:175], a[94:95], v[206:207], v[172:175]// 000000007178: D3F300AC 0EB39D5E
	s_waitcnt vmcnt(16)                                        // 000000007180: BF8C4F70
	s_barrier                                                  // 000000007184: BF8A0000
	v_mfma_f32_16x16x32_fp8_fp8 v[64:67], a[96:97], v[176:177], v[64:67]// 000000007188: D3F30040 0D036160
	buffer_load_dwordx4 a[0:3], v34, s[24:27], 0 offen         // 000000007190: E05C1000 80860022
	v_mfma_f32_16x16x32_fp8_fp8 v[64:67], a[98:99], v[178:179], v[64:67]// 000000007198: D3F30040 0D036562
	v_mfma_f32_16x16x32_fp8_fp8 v[64:67], a[100:101], v[180:181], v[64:67]// 0000000071A0: D3F30040 0D036964
	v_mfma_f32_16x16x32_fp8_fp8 v[64:67], a[102:103], v[182:183], v[64:67]// 0000000071A8: D3F30040 0D036D66
	v_mfma_f32_16x16x32_fp8_fp8 v[64:67], a[104:105], v[184:185], v[64:67]// 0000000071B0: D3F30040 0D037168
	buffer_load_dwordx4 a[4:7], v34, s[24:27], 0 offen offset:1024// 0000000071B8: E05C1400 80860422
	v_mfma_f32_16x16x32_fp8_fp8 v[64:67], a[106:107], v[186:187], v[64:67]// 0000000071C0: D3F30040 0D03756A
	v_mfma_f32_16x16x32_fp8_fp8 v[64:67], a[108:109], v[188:189], v[64:67]// 0000000071C8: D3F30040 0D03796C
	v_mfma_f32_16x16x32_fp8_fp8 v[64:67], a[110:111], v[190:191], v[64:67]// 0000000071D0: D3F30040 0D037D6E
	v_mfma_f32_16x16x32_fp8_fp8 v[68:71], a[96:97], v[192:193], v[68:71]// 0000000071D8: D3F30044 0D138160
	buffer_load_dwordx4 a[8:11], v34, s[24:27], 0 offen offset:2048// 0000000071E0: E05C1800 80860822
	v_mfma_f32_16x16x32_fp8_fp8 v[68:71], a[98:99], v[194:195], v[68:71]// 0000000071E8: D3F30044 0D138562
	v_mfma_f32_16x16x32_fp8_fp8 v[68:71], a[100:101], v[196:197], v[68:71]// 0000000071F0: D3F30044 0D138964
	v_mfma_f32_16x16x32_fp8_fp8 v[68:71], a[102:103], v[198:199], v[68:71]// 0000000071F8: D3F30044 0D138D66
	v_mfma_f32_16x16x32_fp8_fp8 v[68:71], a[104:105], v[200:201], v[68:71]// 000000007200: D3F30044 0D139168
	buffer_load_dwordx4 a[12:15], v34, s[24:27], 0 offen offset:3072// 000000007208: E05C1C00 80860C22
	v_mfma_f32_16x16x32_fp8_fp8 v[68:71], a[106:107], v[202:203], v[68:71]// 000000007210: D3F30044 0D13956A
	v_mfma_f32_16x16x32_fp8_fp8 v[68:71], a[108:109], v[204:205], v[68:71]// 000000007218: D3F30044 0D13996C
	v_mfma_f32_16x16x32_fp8_fp8 v[68:71], a[110:111], v[206:207], v[68:71]// 000000007220: D3F30044 0D139D6E
	v_mfma_f32_16x16x32_fp8_fp8 v[72:75], a[112:113], v[176:177], v[72:75]// 000000007228: D3F30048 0D236170
	buffer_load_dwordx4 a[16:19], v35, s[24:27], 0 offen       // 000000007230: E05C1000 80861023
	v_mfma_f32_16x16x32_fp8_fp8 v[72:75], a[114:115], v[178:179], v[72:75]// 000000007238: D3F30048 0D236572
	v_mfma_f32_16x16x32_fp8_fp8 v[72:75], a[116:117], v[180:181], v[72:75]// 000000007240: D3F30048 0D236974
	v_mfma_f32_16x16x32_fp8_fp8 v[72:75], a[118:119], v[182:183], v[72:75]// 000000007248: D3F30048 0D236D76
	v_mfma_f32_16x16x32_fp8_fp8 v[72:75], a[120:121], v[184:185], v[72:75]// 000000007250: D3F30048 0D237178
	buffer_load_dwordx4 a[20:23], v35, s[24:27], 0 offen offset:1024// 000000007258: E05C1400 80861423
	v_mfma_f32_16x16x32_fp8_fp8 v[72:75], a[122:123], v[186:187], v[72:75]// 000000007260: D3F30048 0D23757A
	v_mfma_f32_16x16x32_fp8_fp8 v[72:75], a[124:125], v[188:189], v[72:75]// 000000007268: D3F30048 0D23797C
	v_mfma_f32_16x16x32_fp8_fp8 v[72:75], a[126:127], v[190:191], v[72:75]// 000000007270: D3F30048 0D237D7E
	v_mfma_f32_16x16x32_fp8_fp8 v[76:79], a[112:113], v[192:193], v[76:79]// 000000007278: D3F3004C 0D338170
	buffer_load_dwordx4 a[24:27], v35, s[24:27], 0 offen offset:2048// 000000007280: E05C1800 80861823
	v_mfma_f32_16x16x32_fp8_fp8 v[76:79], a[114:115], v[194:195], v[76:79]// 000000007288: D3F3004C 0D338572
	v_mfma_f32_16x16x32_fp8_fp8 v[76:79], a[116:117], v[196:197], v[76:79]// 000000007290: D3F3004C 0D338974
	v_mfma_f32_16x16x32_fp8_fp8 v[76:79], a[118:119], v[198:199], v[76:79]// 000000007298: D3F3004C 0D338D76
	v_mfma_f32_16x16x32_fp8_fp8 v[76:79], a[120:121], v[200:201], v[76:79]// 0000000072A0: D3F3004C 0D339178
	buffer_load_dwordx4 a[28:31], v35, s[24:27], 0 offen offset:3072// 0000000072A8: E05C1C00 80861C23
	v_mfma_f32_16x16x32_fp8_fp8 v[76:79], a[122:123], v[202:203], v[76:79]// 0000000072B0: D3F3004C 0D33957A
	v_mfma_f32_16x16x32_fp8_fp8 v[76:79], a[124:125], v[204:205], v[76:79]// 0000000072B8: D3F3004C 0D33997C
	v_mfma_f32_16x16x32_fp8_fp8 v[76:79], a[126:127], v[206:207], v[76:79]// 0000000072C0: D3F3004C 0D339D7E
	s_waitcnt vmcnt(20)                                        // 0000000072C8: BF8C4F74
	v_mfma_f32_16x16x32_fp8_fp8 v[80:83], a[128:129], v[176:177], v[80:83]// 0000000072CC: D3F30050 0D436180
	buffer_load_dwordx4 a[32:35], v36, s[24:27], 0 offen       // 0000000072D4: E05C1000 80862024
	v_mfma_f32_16x16x32_fp8_fp8 v[80:83], a[130:131], v[178:179], v[80:83]// 0000000072DC: D3F30050 0D436582
	v_mfma_f32_16x16x32_fp8_fp8 v[80:83], a[132:133], v[180:181], v[80:83]// 0000000072E4: D3F30050 0D436984
	ds_read_b128 v[208:211], v2 offset:8320                    // 0000000072EC: D9FE2080 D0000002
	v_mfma_f32_16x16x32_fp8_fp8 v[80:83], a[134:135], v[182:183], v[80:83]// 0000000072F4: D3F30050 0D436D86
	v_mfma_f32_16x16x32_fp8_fp8 v[80:83], a[136:137], v[184:185], v[80:83]// 0000000072FC: D3F30050 0D437188
	buffer_load_dwordx4 a[36:39], v36, s[24:27], 0 offen offset:1024// 000000007304: E05C1400 80862424
	v_mfma_f32_16x16x32_fp8_fp8 v[80:83], a[138:139], v[186:187], v[80:83]// 00000000730C: D3F30050 0D43758A
	v_mfma_f32_16x16x32_fp8_fp8 v[80:83], a[140:141], v[188:189], v[80:83]// 000000007314: D3F30050 0D43798C
	ds_read_b128 v[212:215], v2 offset:8384                    // 00000000731C: D9FE20C0 D4000002
	v_mfma_f32_16x16x32_fp8_fp8 v[80:83], a[142:143], v[190:191], v[80:83]// 000000007324: D3F30050 0D437D8E
	v_mfma_f32_16x16x32_fp8_fp8 v[84:87], a[128:129], v[192:193], v[84:87]// 00000000732C: D3F30054 0D538180
	buffer_load_dwordx4 a[40:43], v36, s[24:27], 0 offen offset:2048// 000000007334: E05C1800 80862824
	v_mfma_f32_16x16x32_fp8_fp8 v[84:87], a[130:131], v[194:195], v[84:87]// 00000000733C: D3F30054 0D538582
	v_mfma_f32_16x16x32_fp8_fp8 v[84:87], a[132:133], v[196:197], v[84:87]// 000000007344: D3F30054 0D538984
	ds_read_b128 v[216:219], v2 offset:8448                    // 00000000734C: D9FE2100 D8000002
	v_mfma_f32_16x16x32_fp8_fp8 v[84:87], a[134:135], v[198:199], v[84:87]// 000000007354: D3F30054 0D538D86
	v_mfma_f32_16x16x32_fp8_fp8 v[84:87], a[136:137], v[200:201], v[84:87]// 00000000735C: D3F30054 0D539188
	buffer_load_dwordx4 a[44:47], v36, s[24:27], 0 offen offset:3072// 000000007364: E05C1C00 80862C24
	v_mfma_f32_16x16x32_fp8_fp8 v[84:87], a[138:139], v[202:203], v[84:87]// 00000000736C: D3F30054 0D53958A
	v_mfma_f32_16x16x32_fp8_fp8 v[84:87], a[140:141], v[204:205], v[84:87]// 000000007374: D3F30054 0D53998C
	ds_read_b128 v[220:223], v2 offset:8512                    // 00000000737C: D9FE2140 DC000002
	v_mfma_f32_16x16x32_fp8_fp8 v[84:87], a[142:143], v[206:207], v[84:87]// 000000007384: D3F30054 0D539D8E
	s_waitcnt vmcnt(20)                                        // 00000000738C: BF8C4F74
	v_mfma_f32_16x16x32_fp8_fp8 v[88:91], a[144:145], v[176:177], v[88:91]// 000000007390: D3F30058 0D636190
	buffer_load_dwordx4 a[48:51], v37, s[24:27], 0 offen       // 000000007398: E05C1000 80863025
	v_mfma_f32_16x16x32_fp8_fp8 v[88:91], a[146:147], v[178:179], v[88:91]// 0000000073A0: D3F30058 0D636592
	v_mfma_f32_16x16x32_fp8_fp8 v[88:91], a[148:149], v[180:181], v[88:91]// 0000000073A8: D3F30058 0D636994
	ds_read_b128 v[224:227], v2 offset:9344                    // 0000000073B0: D9FE2480 E0000002
	v_mfma_f32_16x16x32_fp8_fp8 v[88:91], a[150:151], v[182:183], v[88:91]// 0000000073B8: D3F30058 0D636D96
	v_mfma_f32_16x16x32_fp8_fp8 v[88:91], a[152:153], v[184:185], v[88:91]// 0000000073C0: D3F30058 0D637198
	buffer_load_dwordx4 a[52:55], v37, s[24:27], 0 offen offset:1024// 0000000073C8: E05C1400 80863425
	v_mfma_f32_16x16x32_fp8_fp8 v[88:91], a[154:155], v[186:187], v[88:91]// 0000000073D0: D3F30058 0D63759A
	v_mfma_f32_16x16x32_fp8_fp8 v[88:91], a[156:157], v[188:189], v[88:91]// 0000000073D8: D3F30058 0D63799C
	ds_read_b128 v[228:231], v2 offset:9408                    // 0000000073E0: D9FE24C0 E4000002
	v_mfma_f32_16x16x32_fp8_fp8 v[88:91], a[158:159], v[190:191], v[88:91]// 0000000073E8: D3F30058 0D637D9E
	v_mfma_f32_16x16x32_fp8_fp8 v[92:95], a[144:145], v[192:193], v[92:95]// 0000000073F0: D3F3005C 0D738190
	buffer_load_dwordx4 a[56:59], v37, s[24:27], 0 offen offset:2048// 0000000073F8: E05C1800 80863825
	v_mfma_f32_16x16x32_fp8_fp8 v[92:95], a[146:147], v[194:195], v[92:95]// 000000007400: D3F3005C 0D738592
	v_mfma_f32_16x16x32_fp8_fp8 v[92:95], a[148:149], v[196:197], v[92:95]// 000000007408: D3F3005C 0D738994
	ds_read_b128 v[232:235], v2 offset:9472                    // 000000007410: D9FE2500 E8000002
	v_mfma_f32_16x16x32_fp8_fp8 v[92:95], a[150:151], v[198:199], v[92:95]// 000000007418: D3F3005C 0D738D96
	v_mfma_f32_16x16x32_fp8_fp8 v[92:95], a[152:153], v[200:201], v[92:95]// 000000007420: D3F3005C 0D739198
	buffer_load_dwordx4 a[60:63], v37, s[24:27], 0 offen offset:3072// 000000007428: E05C1C00 80863C25
	v_mfma_f32_16x16x32_fp8_fp8 v[92:95], a[154:155], v[202:203], v[92:95]// 000000007430: D3F3005C 0D73959A
	v_mfma_f32_16x16x32_fp8_fp8 v[92:95], a[156:157], v[204:205], v[92:95]// 000000007438: D3F3005C 0D73999C
	ds_read_b128 v[236:239], v2 offset:9536                    // 000000007440: D9FE2540 EC000002
	v_mfma_f32_16x16x32_fp8_fp8 v[92:95], a[158:159], v[206:207], v[92:95]// 000000007448: D3F3005C 0D739D9E
	s_waitcnt vmcnt(20)                                        // 000000007450: BF8C4F74
	v_mfma_f32_16x16x32_fp8_fp8 v[96:99], a[160:161], v[176:177], v[96:99]// 000000007454: D3F30060 0D8361A0
	buffer_load_dwordx4 a[64:67], v38, s[24:27], 0 offen       // 00000000745C: E05C1000 80864026
	v_mfma_f32_16x16x32_fp8_fp8 v[96:99], a[162:163], v[178:179], v[96:99]// 000000007464: D3F30060 0D8365A2
	v_mfma_f32_16x16x32_fp8_fp8 v[96:99], a[164:165], v[180:181], v[96:99]// 00000000746C: D3F30060 0D8369A4
	v_mfma_f32_16x16x32_fp8_fp8 v[96:99], a[166:167], v[182:183], v[96:99]// 000000007474: D3F30060 0D836DA6
	v_mfma_f32_16x16x32_fp8_fp8 v[96:99], a[168:169], v[184:185], v[96:99]// 00000000747C: D3F30060 0D8371A8
	buffer_load_dwordx4 a[68:71], v38, s[24:27], 0 offen offset:1024// 000000007484: E05C1400 80864426
	v_mfma_f32_16x16x32_fp8_fp8 v[96:99], a[170:171], v[186:187], v[96:99]// 00000000748C: D3F30060 0D8375AA
	v_mfma_f32_16x16x32_fp8_fp8 v[96:99], a[172:173], v[188:189], v[96:99]// 000000007494: D3F30060 0D8379AC
	v_mfma_f32_16x16x32_fp8_fp8 v[96:99], a[174:175], v[190:191], v[96:99]// 00000000749C: D3F30060 0D837DAE
	v_mfma_f32_16x16x32_fp8_fp8 v[100:103], a[160:161], v[192:193], v[100:103]// 0000000074A4: D3F30064 0D9381A0
	buffer_load_dwordx4 a[72:75], v38, s[24:27], 0 offen offset:2048// 0000000074AC: E05C1800 80864826
	v_mfma_f32_16x16x32_fp8_fp8 v[100:103], a[162:163], v[194:195], v[100:103]// 0000000074B4: D3F30064 0D9385A2
	v_mfma_f32_16x16x32_fp8_fp8 v[100:103], a[164:165], v[196:197], v[100:103]// 0000000074BC: D3F30064 0D9389A4
	v_mfma_f32_16x16x32_fp8_fp8 v[100:103], a[166:167], v[198:199], v[100:103]// 0000000074C4: D3F30064 0D938DA6
	v_mfma_f32_16x16x32_fp8_fp8 v[100:103], a[168:169], v[200:201], v[100:103]// 0000000074CC: D3F30064 0D9391A8
	buffer_load_dwordx4 a[76:79], v38, s[24:27], 0 offen offset:3072// 0000000074D4: E05C1C00 80864C26
	v_mfma_f32_16x16x32_fp8_fp8 v[100:103], a[170:171], v[202:203], v[100:103]// 0000000074DC: D3F30064 0D9395AA
	v_mfma_f32_16x16x32_fp8_fp8 v[100:103], a[172:173], v[204:205], v[100:103]// 0000000074E4: D3F30064 0D9399AC
	v_mfma_f32_16x16x32_fp8_fp8 v[100:103], a[174:175], v[206:207], v[100:103]// 0000000074EC: D3F30064 0D939DAE
	s_waitcnt vmcnt(20)                                        // 0000000074F4: BF8C4F74
	v_mfma_f32_16x16x32_fp8_fp8 v[104:107], a[176:177], v[176:177], v[104:107]// 0000000074F8: D3F30068 0DA361B0
	buffer_load_dwordx4 a[80:83], v39, s[24:27], 0 offen       // 000000007500: E05C1000 80865027
	v_mfma_f32_16x16x32_fp8_fp8 v[104:107], a[178:179], v[178:179], v[104:107]// 000000007508: D3F30068 0DA365B2
	v_mfma_f32_16x16x32_fp8_fp8 v[104:107], a[180:181], v[180:181], v[104:107]// 000000007510: D3F30068 0DA369B4
	v_mfma_f32_16x16x32_fp8_fp8 v[104:107], a[182:183], v[182:183], v[104:107]// 000000007518: D3F30068 0DA36DB6
	v_mfma_f32_16x16x32_fp8_fp8 v[104:107], a[184:185], v[184:185], v[104:107]// 000000007520: D3F30068 0DA371B8
	buffer_load_dwordx4 a[84:87], v39, s[24:27], 0 offen offset:1024// 000000007528: E05C1400 80865427
	v_mfma_f32_16x16x32_fp8_fp8 v[104:107], a[186:187], v[186:187], v[104:107]// 000000007530: D3F30068 0DA375BA
	v_mfma_f32_16x16x32_fp8_fp8 v[104:107], a[188:189], v[188:189], v[104:107]// 000000007538: D3F30068 0DA379BC
	v_mfma_f32_16x16x32_fp8_fp8 v[104:107], a[190:191], v[190:191], v[104:107]// 000000007540: D3F30068 0DA37DBE
	v_mfma_f32_16x16x32_fp8_fp8 v[108:111], a[176:177], v[192:193], v[108:111]// 000000007548: D3F3006C 0DB381B0
	buffer_load_dwordx4 a[88:91], v39, s[24:27], 0 offen offset:2048// 000000007550: E05C1800 80865827
	v_mfma_f32_16x16x32_fp8_fp8 v[108:111], a[178:179], v[194:195], v[108:111]// 000000007558: D3F3006C 0DB385B2
	v_mfma_f32_16x16x32_fp8_fp8 v[108:111], a[180:181], v[196:197], v[108:111]// 000000007560: D3F3006C 0DB389B4
	v_mfma_f32_16x16x32_fp8_fp8 v[108:111], a[182:183], v[198:199], v[108:111]// 000000007568: D3F3006C 0DB38DB6
	v_mfma_f32_16x16x32_fp8_fp8 v[108:111], a[184:185], v[200:201], v[108:111]// 000000007570: D3F3006C 0DB391B8
	buffer_load_dwordx4 a[92:95], v39, s[24:27], 0 offen offset:3072// 000000007578: E05C1C00 80865C27
	v_mfma_f32_16x16x32_fp8_fp8 v[108:111], a[186:187], v[202:203], v[108:111]// 000000007580: D3F3006C 0DB395BA
	v_mfma_f32_16x16x32_fp8_fp8 v[108:111], a[188:189], v[204:205], v[108:111]// 000000007588: D3F3006C 0DB399BC
	v_mfma_f32_16x16x32_fp8_fp8 v[108:111], a[190:191], v[206:207], v[108:111]// 000000007590: D3F3006C 0DB39DBE
	s_add_u32 s60, 0x200, s80                                  // 000000007598: 803C50FF 00000200
	s_cmp_lt_u32 s60, s81                                      // 0000000075A0: BF0A513C
	s_cselect_b32 s57, s57, 0                                  // 0000000075A4: 85398039
	s_add_u32 s60, 0x200, s80                                  // 0000000075A8: 803C50FF 00000200
	s_cmp_lt_u32 s60, s81                                      // 0000000075B0: BF0A513C
	s_cselect_b32 s58, s58, 0                                  // 0000000075B4: 853A803A
	s_add_u32 s20, s57, s20                                    // 0000000075B8: 80141439
	s_addc_u32 s21, 0, s21                                     // 0000000075BC: 82151580
	s_add_u32 s24, s58, s24                                    // 0000000075C0: 8018183A
	s_addc_u32 s25, 0, s25                                     // 0000000075C4: 82191980
	s_add_u32 s92, s90, s92                                    // 0000000075C8: 805C5C5A
	s_addc_u32 s93, 0, s93                                     // 0000000075CC: 825D5D80
	s_addk_i32 s80, 0x100                                      // 0000000075D0: B7500100
	s_cmp_lt_i32 s80, s81                                      // 0000000075D4: BF045150
	s_cbranch_scc0 label_1424                                  // 0000000075D8: BF84022D
	s_waitcnt vmcnt(16) lgkmcnt(0)                             // 0000000075DC: BF8C4070
	s_barrier                                                  // 0000000075E0: BF8A0000
	v_mfma_f32_16x16x32_fp8_fp8 v[128:131], a[0:1], v[208:209], v[128:131]// 0000000075E4: D3F30080 0E03A100
	buffer_load_dwordx4 a[96:99], v34, s[92:95], 0 offen       // 0000000075EC: E05C1000 80976022
	v_mfma_f32_16x16x32_fp8_fp8 v[128:131], a[2:3], v[210:211], v[128:131]// 0000000075F4: D3F30080 0E03A502
	v_mfma_f32_16x16x32_fp8_fp8 v[128:131], a[4:5], v[212:213], v[128:131]// 0000000075FC: D3F30080 0E03A904
	buffer_load_dword v26, s[20:23], 0 offen lds               // 000000007604: E0511000 8005001A
	s_add_u32 m0, 0x100, s50                                   // 00000000760C: 807C32FF 00000100
	v_mfma_f32_16x16x32_fp8_fp8 v[128:131], a[6:7], v[214:215], v[128:131]// 000000007614: D3F30080 0E03AD06
	v_mfma_f32_16x16x32_fp8_fp8 v[128:131], a[8:9], v[216:217], v[128:131]// 00000000761C: D3F30080 0E03B108
	buffer_load_dwordx4 a[100:103], v34, s[92:95], 0 offen offset:1024// 000000007624: E05C1400 80976422
	v_mfma_f32_16x16x32_fp8_fp8 v[128:131], a[10:11], v[218:219], v[128:131]// 00000000762C: D3F30080 0E03B50A
	v_mfma_f32_16x16x32_fp8_fp8 v[128:131], a[12:13], v[220:221], v[128:131]// 000000007634: D3F30080 0E03B90C
	buffer_load_dword v27, s[20:23], 0 offen lds               // 00000000763C: E0511000 8005001B
	s_add_u32 m0, 0x200, s50                                   // 000000007644: 807C32FF 00000200
	v_mfma_f32_16x16x32_fp8_fp8 v[128:131], a[14:15], v[222:223], v[128:131]// 00000000764C: D3F30080 0E03BD0E
	v_mfma_f32_16x16x32_fp8_fp8 v[132:135], a[0:1], v[224:225], v[132:135]// 000000007654: D3F30084 0E13C100
	buffer_load_dwordx4 a[104:107], v34, s[92:95], 0 offen offset:2048// 00000000765C: E05C1800 80976822
	v_mfma_f32_16x16x32_fp8_fp8 v[132:135], a[2:3], v[226:227], v[132:135]// 000000007664: D3F30084 0E13C502
	v_mfma_f32_16x16x32_fp8_fp8 v[132:135], a[4:5], v[228:229], v[132:135]// 00000000766C: D3F30084 0E13C904
	buffer_load_dword v28, s[20:23], 0 offen lds               // 000000007674: E0511000 8005001C
	s_add_u32 m0, 0x300, s50                                   // 00000000767C: 807C32FF 00000300
	v_mfma_f32_16x16x32_fp8_fp8 v[132:135], a[6:7], v[230:231], v[132:135]// 000000007684: D3F30084 0E13CD06
	v_mfma_f32_16x16x32_fp8_fp8 v[132:135], a[8:9], v[232:233], v[132:135]// 00000000768C: D3F30084 0E13D108
	buffer_load_dwordx4 a[108:111], v34, s[92:95], 0 offen offset:3072// 000000007694: E05C1C00 80976C22
	v_mfma_f32_16x16x32_fp8_fp8 v[132:135], a[10:11], v[234:235], v[132:135]// 00000000769C: D3F30084 0E13D50A
	v_mfma_f32_16x16x32_fp8_fp8 v[132:135], a[12:13], v[236:237], v[132:135]// 0000000076A4: D3F30084 0E13D90C
	buffer_load_dword v29, s[20:23], 0 offen lds               // 0000000076AC: E0511000 8005001D
	s_add_u32 m0, 0x400, s50                                   // 0000000076B4: 807C32FF 00000400
	v_mfma_f32_16x16x32_fp8_fp8 v[132:135], a[14:15], v[238:239], v[132:135]// 0000000076BC: D3F30084 0E13DD0E
	v_mfma_f32_16x16x32_fp8_fp8 v[136:139], a[16:17], v[208:209], v[136:139]// 0000000076C4: D3F30088 0E23A110
	buffer_load_dwordx4 a[112:115], v35, s[92:95], 0 offen     // 0000000076CC: E05C1000 80977023
	v_mfma_f32_16x16x32_fp8_fp8 v[136:139], a[18:19], v[210:211], v[136:139]// 0000000076D4: D3F30088 0E23A512
	v_mfma_f32_16x16x32_fp8_fp8 v[136:139], a[20:21], v[212:213], v[136:139]// 0000000076DC: D3F30088 0E23A914
	buffer_load_dword v30, s[20:23], 0 offen lds               // 0000000076E4: E0511000 8005001E
	s_add_u32 m0, 0x500, s50                                   // 0000000076EC: 807C32FF 00000500
	v_mfma_f32_16x16x32_fp8_fp8 v[136:139], a[22:23], v[214:215], v[136:139]// 0000000076F4: D3F30088 0E23AD16
	v_mfma_f32_16x16x32_fp8_fp8 v[136:139], a[24:25], v[216:217], v[136:139]// 0000000076FC: D3F30088 0E23B118
	buffer_load_dwordx4 a[116:119], v35, s[92:95], 0 offen offset:1024// 000000007704: E05C1400 80977423
	v_mfma_f32_16x16x32_fp8_fp8 v[136:139], a[26:27], v[218:219], v[136:139]// 00000000770C: D3F30088 0E23B51A
	v_mfma_f32_16x16x32_fp8_fp8 v[136:139], a[28:29], v[220:221], v[136:139]// 000000007714: D3F30088 0E23B91C
	buffer_load_dword v31, s[20:23], 0 offen lds               // 00000000771C: E0511000 8005001F
	s_add_u32 m0, 0x600, s50                                   // 000000007724: 807C32FF 00000600
	v_mfma_f32_16x16x32_fp8_fp8 v[136:139], a[30:31], v[222:223], v[136:139]// 00000000772C: D3F30088 0E23BD1E
	v_mfma_f32_16x16x32_fp8_fp8 v[140:143], a[16:17], v[224:225], v[140:143]// 000000007734: D3F3008C 0E33C110
	buffer_load_dwordx4 a[120:123], v35, s[92:95], 0 offen offset:2048// 00000000773C: E05C1800 80977823
	v_mfma_f32_16x16x32_fp8_fp8 v[140:143], a[18:19], v[226:227], v[140:143]// 000000007744: D3F3008C 0E33C512
	v_mfma_f32_16x16x32_fp8_fp8 v[140:143], a[20:21], v[228:229], v[140:143]// 00000000774C: D3F3008C 0E33C914
	buffer_load_dword v32, s[20:23], 0 offen lds               // 000000007754: E0511000 80050020
	s_add_u32 m0, 0x700, s50                                   // 00000000775C: 807C32FF 00000700
	v_mfma_f32_16x16x32_fp8_fp8 v[140:143], a[22:23], v[230:231], v[140:143]// 000000007764: D3F3008C 0E33CD16
	v_mfma_f32_16x16x32_fp8_fp8 v[140:143], a[24:25], v[232:233], v[140:143]// 00000000776C: D3F3008C 0E33D118
	buffer_load_dwordx4 a[124:127], v35, s[92:95], 0 offen offset:3072// 000000007774: E05C1C00 80977C23
	v_mfma_f32_16x16x32_fp8_fp8 v[140:143], a[26:27], v[234:235], v[140:143]// 00000000777C: D3F3008C 0E33D51A
	v_mfma_f32_16x16x32_fp8_fp8 v[140:143], a[28:29], v[236:237], v[140:143]// 000000007784: D3F3008C 0E33D91C
	buffer_load_dword v33, s[20:23], 0 offen lds               // 00000000778C: E0511000 80050021
	s_add_u32 m0, 0, s51                                       // 000000007794: 807C3380
	v_mfma_f32_16x16x32_fp8_fp8 v[140:143], a[30:31], v[238:239], v[140:143]// 000000007798: D3F3008C 0E33DD1E
	s_waitcnt vmcnt(28)                                        // 0000000077A0: BF8C4F7C
	v_mfma_f32_16x16x32_fp8_fp8 v[144:147], a[32:33], v[208:209], v[144:147]// 0000000077A4: D3F30090 0E43A120
	buffer_load_dwordx4 a[128:131], v36, s[92:95], 0 offen     // 0000000077AC: E05C1000 80978024
	v_mfma_f32_16x16x32_fp8_fp8 v[144:147], a[34:35], v[210:211], v[144:147]// 0000000077B4: D3F30090 0E43A522
	v_mfma_f32_16x16x32_fp8_fp8 v[144:147], a[36:37], v[212:213], v[144:147]// 0000000077BC: D3F30090 0E43A924
	v_mfma_f32_16x16x32_fp8_fp8 v[144:147], a[38:39], v[214:215], v[144:147]// 0000000077C4: D3F30090 0E43AD26
	v_mfma_f32_16x16x32_fp8_fp8 v[144:147], a[40:41], v[216:217], v[144:147]// 0000000077CC: D3F30090 0E43B128
	buffer_load_dwordx4 a[132:135], v36, s[92:95], 0 offen offset:1024// 0000000077D4: E05C1400 80978424
	v_mfma_f32_16x16x32_fp8_fp8 v[144:147], a[42:43], v[218:219], v[144:147]// 0000000077DC: D3F30090 0E43B52A
	v_mfma_f32_16x16x32_fp8_fp8 v[144:147], a[44:45], v[220:221], v[144:147]// 0000000077E4: D3F30090 0E43B92C
	v_mfma_f32_16x16x32_fp8_fp8 v[144:147], a[46:47], v[222:223], v[144:147]// 0000000077EC: D3F30090 0E43BD2E
	v_mfma_f32_16x16x32_fp8_fp8 v[148:151], a[32:33], v[224:225], v[148:151]// 0000000077F4: D3F30094 0E53C120
	buffer_load_dwordx4 a[136:139], v36, s[92:95], 0 offen offset:2048// 0000000077FC: E05C1800 80978824
	v_mfma_f32_16x16x32_fp8_fp8 v[148:151], a[34:35], v[226:227], v[148:151]// 000000007804: D3F30094 0E53C522
	v_mfma_f32_16x16x32_fp8_fp8 v[148:151], a[36:37], v[228:229], v[148:151]// 00000000780C: D3F30094 0E53C924
	v_mfma_f32_16x16x32_fp8_fp8 v[148:151], a[38:39], v[230:231], v[148:151]// 000000007814: D3F30094 0E53CD26
	v_mfma_f32_16x16x32_fp8_fp8 v[148:151], a[40:41], v[232:233], v[148:151]// 00000000781C: D3F30094 0E53D128
	buffer_load_dwordx4 a[140:143], v36, s[92:95], 0 offen offset:3072// 000000007824: E05C1C00 80978C24
	v_mfma_f32_16x16x32_fp8_fp8 v[148:151], a[42:43], v[234:235], v[148:151]// 00000000782C: D3F30094 0E53D52A
	v_mfma_f32_16x16x32_fp8_fp8 v[148:151], a[44:45], v[236:237], v[148:151]// 000000007834: D3F30094 0E53D92C
	v_mfma_f32_16x16x32_fp8_fp8 v[148:151], a[46:47], v[238:239], v[148:151]// 00000000783C: D3F30094 0E53DD2E
	s_waitcnt vmcnt(28)                                        // 000000007844: BF8C4F7C
	v_mfma_f32_16x16x32_fp8_fp8 v[152:155], a[48:49], v[208:209], v[152:155]// 000000007848: D3F30098 0E63A130
	buffer_load_dwordx4 a[144:147], v37, s[92:95], 0 offen     // 000000007850: E05C1000 80979025
	v_mfma_f32_16x16x32_fp8_fp8 v[152:155], a[50:51], v[210:211], v[152:155]// 000000007858: D3F30098 0E63A532
	v_mfma_f32_16x16x32_fp8_fp8 v[152:155], a[52:53], v[212:213], v[152:155]// 000000007860: D3F30098 0E63A934
	v_mfma_f32_16x16x32_fp8_fp8 v[152:155], a[54:55], v[214:215], v[152:155]// 000000007868: D3F30098 0E63AD36
	v_mfma_f32_16x16x32_fp8_fp8 v[152:155], a[56:57], v[216:217], v[152:155]// 000000007870: D3F30098 0E63B138
	buffer_load_dwordx4 a[148:151], v37, s[92:95], 0 offen offset:1024// 000000007878: E05C1400 80979425
	v_mfma_f32_16x16x32_fp8_fp8 v[152:155], a[58:59], v[218:219], v[152:155]// 000000007880: D3F30098 0E63B53A
	v_mfma_f32_16x16x32_fp8_fp8 v[152:155], a[60:61], v[220:221], v[152:155]// 000000007888: D3F30098 0E63B93C
	v_mfma_f32_16x16x32_fp8_fp8 v[152:155], a[62:63], v[222:223], v[152:155]// 000000007890: D3F30098 0E63BD3E
	v_mfma_f32_16x16x32_fp8_fp8 v[156:159], a[48:49], v[224:225], v[156:159]// 000000007898: D3F3009C 0E73C130
	buffer_load_dwordx4 a[152:155], v37, s[92:95], 0 offen offset:2048// 0000000078A0: E05C1800 80979825
	v_mfma_f32_16x16x32_fp8_fp8 v[156:159], a[50:51], v[226:227], v[156:159]// 0000000078A8: D3F3009C 0E73C532
	v_mfma_f32_16x16x32_fp8_fp8 v[156:159], a[52:53], v[228:229], v[156:159]// 0000000078B0: D3F3009C 0E73C934
	v_mfma_f32_16x16x32_fp8_fp8 v[156:159], a[54:55], v[230:231], v[156:159]// 0000000078B8: D3F3009C 0E73CD36
	v_mfma_f32_16x16x32_fp8_fp8 v[156:159], a[56:57], v[232:233], v[156:159]// 0000000078C0: D3F3009C 0E73D138
	buffer_load_dwordx4 a[156:159], v37, s[92:95], 0 offen offset:3072// 0000000078C8: E05C1C00 80979C25
	v_mfma_f32_16x16x32_fp8_fp8 v[156:159], a[58:59], v[234:235], v[156:159]// 0000000078D0: D3F3009C 0E73D53A
	v_mfma_f32_16x16x32_fp8_fp8 v[156:159], a[60:61], v[236:237], v[156:159]// 0000000078D8: D3F3009C 0E73D93C
	v_mfma_f32_16x16x32_fp8_fp8 v[156:159], a[62:63], v[238:239], v[156:159]// 0000000078E0: D3F3009C 0E73DD3E
	s_waitcnt vmcnt(28)                                        // 0000000078E8: BF8C4F7C
	v_mfma_f32_16x16x32_fp8_fp8 v[160:163], a[64:65], v[208:209], v[160:163]// 0000000078EC: D3F300A0 0E83A140
	buffer_load_dwordx4 a[160:163], v38, s[92:95], 0 offen     // 0000000078F4: E05C1000 8097A026
	v_mfma_f32_16x16x32_fp8_fp8 v[160:163], a[66:67], v[210:211], v[160:163]// 0000000078FC: D3F300A0 0E83A542
	v_mfma_f32_16x16x32_fp8_fp8 v[160:163], a[68:69], v[212:213], v[160:163]// 000000007904: D3F300A0 0E83A944
	v_mfma_f32_16x16x32_fp8_fp8 v[160:163], a[70:71], v[214:215], v[160:163]// 00000000790C: D3F300A0 0E83AD46
	v_mfma_f32_16x16x32_fp8_fp8 v[160:163], a[72:73], v[216:217], v[160:163]// 000000007914: D3F300A0 0E83B148
	buffer_load_dwordx4 a[164:167], v38, s[92:95], 0 offen offset:1024// 00000000791C: E05C1400 8097A426
	v_mfma_f32_16x16x32_fp8_fp8 v[160:163], a[74:75], v[218:219], v[160:163]// 000000007924: D3F300A0 0E83B54A
	v_mfma_f32_16x16x32_fp8_fp8 v[160:163], a[76:77], v[220:221], v[160:163]// 00000000792C: D3F300A0 0E83B94C
	v_mfma_f32_16x16x32_fp8_fp8 v[160:163], a[78:79], v[222:223], v[160:163]// 000000007934: D3F300A0 0E83BD4E
	v_mfma_f32_16x16x32_fp8_fp8 v[164:167], a[64:65], v[224:225], v[164:167]// 00000000793C: D3F300A4 0E93C140
	buffer_load_dwordx4 a[168:171], v38, s[92:95], 0 offen offset:2048// 000000007944: E05C1800 8097A826
	v_mfma_f32_16x16x32_fp8_fp8 v[164:167], a[66:67], v[226:227], v[164:167]// 00000000794C: D3F300A4 0E93C542
	v_mfma_f32_16x16x32_fp8_fp8 v[164:167], a[68:69], v[228:229], v[164:167]// 000000007954: D3F300A4 0E93C944
	v_mfma_f32_16x16x32_fp8_fp8 v[164:167], a[70:71], v[230:231], v[164:167]// 00000000795C: D3F300A4 0E93CD46
	v_mfma_f32_16x16x32_fp8_fp8 v[164:167], a[72:73], v[232:233], v[164:167]// 000000007964: D3F300A4 0E93D148
	buffer_load_dwordx4 a[172:175], v38, s[92:95], 0 offen offset:3072// 00000000796C: E05C1C00 8097AC26
	v_mfma_f32_16x16x32_fp8_fp8 v[164:167], a[74:75], v[234:235], v[164:167]// 000000007974: D3F300A4 0E93D54A
	v_mfma_f32_16x16x32_fp8_fp8 v[164:167], a[76:77], v[236:237], v[164:167]// 00000000797C: D3F300A4 0E93D94C
	v_mfma_f32_16x16x32_fp8_fp8 v[164:167], a[78:79], v[238:239], v[164:167]// 000000007984: D3F300A4 0E93DD4E
	s_waitcnt vmcnt(28)                                        // 00000000798C: BF8C4F7C
	v_mfma_f32_16x16x32_fp8_fp8 v[168:171], a[80:81], v[208:209], v[168:171]// 000000007990: D3F300A8 0EA3A150
	buffer_load_dwordx4 a[176:179], v39, s[92:95], 0 offen     // 000000007998: E05C1000 8097B027
	v_mfma_f32_16x16x32_fp8_fp8 v[168:171], a[82:83], v[210:211], v[168:171]// 0000000079A0: D3F300A8 0EA3A552
	v_mfma_f32_16x16x32_fp8_fp8 v[168:171], a[84:85], v[212:213], v[168:171]// 0000000079A8: D3F300A8 0EA3A954
	v_mfma_f32_16x16x32_fp8_fp8 v[168:171], a[86:87], v[214:215], v[168:171]// 0000000079B0: D3F300A8 0EA3AD56
	v_mfma_f32_16x16x32_fp8_fp8 v[168:171], a[88:89], v[216:217], v[168:171]// 0000000079B8: D3F300A8 0EA3B158
	buffer_load_dwordx4 a[180:183], v39, s[92:95], 0 offen offset:1024// 0000000079C0: E05C1400 8097B427
	v_mfma_f32_16x16x32_fp8_fp8 v[168:171], a[90:91], v[218:219], v[168:171]// 0000000079C8: D3F300A8 0EA3B55A
	v_mfma_f32_16x16x32_fp8_fp8 v[168:171], a[92:93], v[220:221], v[168:171]// 0000000079D0: D3F300A8 0EA3B95C
	v_mfma_f32_16x16x32_fp8_fp8 v[168:171], a[94:95], v[222:223], v[168:171]// 0000000079D8: D3F300A8 0EA3BD5E
	v_mfma_f32_16x16x32_fp8_fp8 v[172:175], a[80:81], v[224:225], v[172:175]// 0000000079E0: D3F300AC 0EB3C150
	buffer_load_dwordx4 a[184:187], v39, s[92:95], 0 offen offset:2048// 0000000079E8: E05C1800 8097B827
	v_mfma_f32_16x16x32_fp8_fp8 v[172:175], a[82:83], v[226:227], v[172:175]// 0000000079F0: D3F300AC 0EB3C552
	v_mfma_f32_16x16x32_fp8_fp8 v[172:175], a[84:85], v[228:229], v[172:175]// 0000000079F8: D3F300AC 0EB3C954
	v_mfma_f32_16x16x32_fp8_fp8 v[172:175], a[86:87], v[230:231], v[172:175]// 000000007A00: D3F300AC 0EB3CD56
	v_mfma_f32_16x16x32_fp8_fp8 v[172:175], a[88:89], v[232:233], v[172:175]// 000000007A08: D3F300AC 0EB3D158
	buffer_load_dwordx4 a[188:191], v39, s[92:95], 0 offen offset:3072// 000000007A10: E05C1C00 8097BC27
	v_mfma_f32_16x16x32_fp8_fp8 v[172:175], a[90:91], v[234:235], v[172:175]// 000000007A18: D3F300AC 0EB3D55A
	v_mfma_f32_16x16x32_fp8_fp8 v[172:175], a[92:93], v[236:237], v[172:175]// 000000007A20: D3F300AC 0EB3D95C
	v_mfma_f32_16x16x32_fp8_fp8 v[172:175], a[94:95], v[238:239], v[172:175]// 000000007A28: D3F300AC 0EB3DD5E
	s_waitcnt vmcnt(16)                                        // 000000007A30: BF8C4F70
	s_barrier                                                  // 000000007A34: BF8A0000
	v_mfma_f32_16x16x32_fp8_fp8 v[64:67], a[96:97], v[208:209], v[64:67]// 000000007A38: D3F30040 0D03A160
	buffer_load_dwordx4 a[0:3], v34, s[24:27], 0 offen         // 000000007A40: E05C1000 80860022
	v_mfma_f32_16x16x32_fp8_fp8 v[64:67], a[98:99], v[210:211], v[64:67]// 000000007A48: D3F30040 0D03A562
	v_mfma_f32_16x16x32_fp8_fp8 v[64:67], a[100:101], v[212:213], v[64:67]// 000000007A50: D3F30040 0D03A964
	v_mfma_f32_16x16x32_fp8_fp8 v[64:67], a[102:103], v[214:215], v[64:67]// 000000007A58: D3F30040 0D03AD66
	v_mfma_f32_16x16x32_fp8_fp8 v[64:67], a[104:105], v[216:217], v[64:67]// 000000007A60: D3F30040 0D03B168
	buffer_load_dwordx4 a[4:7], v34, s[24:27], 0 offen offset:1024// 000000007A68: E05C1400 80860422
	v_mfma_f32_16x16x32_fp8_fp8 v[64:67], a[106:107], v[218:219], v[64:67]// 000000007A70: D3F30040 0D03B56A
	v_mfma_f32_16x16x32_fp8_fp8 v[64:67], a[108:109], v[220:221], v[64:67]// 000000007A78: D3F30040 0D03B96C
	v_mfma_f32_16x16x32_fp8_fp8 v[64:67], a[110:111], v[222:223], v[64:67]// 000000007A80: D3F30040 0D03BD6E
	v_mfma_f32_16x16x32_fp8_fp8 v[68:71], a[96:97], v[224:225], v[68:71]// 000000007A88: D3F30044 0D13C160
	buffer_load_dwordx4 a[8:11], v34, s[24:27], 0 offen offset:2048// 000000007A90: E05C1800 80860822
	v_mfma_f32_16x16x32_fp8_fp8 v[68:71], a[98:99], v[226:227], v[68:71]// 000000007A98: D3F30044 0D13C562
	v_mfma_f32_16x16x32_fp8_fp8 v[68:71], a[100:101], v[228:229], v[68:71]// 000000007AA0: D3F30044 0D13C964
	v_mfma_f32_16x16x32_fp8_fp8 v[68:71], a[102:103], v[230:231], v[68:71]// 000000007AA8: D3F30044 0D13CD66
	v_mfma_f32_16x16x32_fp8_fp8 v[68:71], a[104:105], v[232:233], v[68:71]// 000000007AB0: D3F30044 0D13D168
	buffer_load_dwordx4 a[12:15], v34, s[24:27], 0 offen offset:3072// 000000007AB8: E05C1C00 80860C22
	v_mfma_f32_16x16x32_fp8_fp8 v[68:71], a[106:107], v[234:235], v[68:71]// 000000007AC0: D3F30044 0D13D56A
	v_mfma_f32_16x16x32_fp8_fp8 v[68:71], a[108:109], v[236:237], v[68:71]// 000000007AC8: D3F30044 0D13D96C
	v_mfma_f32_16x16x32_fp8_fp8 v[68:71], a[110:111], v[238:239], v[68:71]// 000000007AD0: D3F30044 0D13DD6E
	v_mfma_f32_16x16x32_fp8_fp8 v[72:75], a[112:113], v[208:209], v[72:75]// 000000007AD8: D3F30048 0D23A170
	buffer_load_dwordx4 a[16:19], v35, s[24:27], 0 offen       // 000000007AE0: E05C1000 80861023
	v_mfma_f32_16x16x32_fp8_fp8 v[72:75], a[114:115], v[210:211], v[72:75]// 000000007AE8: D3F30048 0D23A572
	v_mfma_f32_16x16x32_fp8_fp8 v[72:75], a[116:117], v[212:213], v[72:75]// 000000007AF0: D3F30048 0D23A974
	v_mfma_f32_16x16x32_fp8_fp8 v[72:75], a[118:119], v[214:215], v[72:75]// 000000007AF8: D3F30048 0D23AD76
	v_mfma_f32_16x16x32_fp8_fp8 v[72:75], a[120:121], v[216:217], v[72:75]// 000000007B00: D3F30048 0D23B178
	buffer_load_dwordx4 a[20:23], v35, s[24:27], 0 offen offset:1024// 000000007B08: E05C1400 80861423
	v_mfma_f32_16x16x32_fp8_fp8 v[72:75], a[122:123], v[218:219], v[72:75]// 000000007B10: D3F30048 0D23B57A
	v_mfma_f32_16x16x32_fp8_fp8 v[72:75], a[124:125], v[220:221], v[72:75]// 000000007B18: D3F30048 0D23B97C
	v_mfma_f32_16x16x32_fp8_fp8 v[72:75], a[126:127], v[222:223], v[72:75]// 000000007B20: D3F30048 0D23BD7E
	v_mfma_f32_16x16x32_fp8_fp8 v[76:79], a[112:113], v[224:225], v[76:79]// 000000007B28: D3F3004C 0D33C170
	buffer_load_dwordx4 a[24:27], v35, s[24:27], 0 offen offset:2048// 000000007B30: E05C1800 80861823
	v_mfma_f32_16x16x32_fp8_fp8 v[76:79], a[114:115], v[226:227], v[76:79]// 000000007B38: D3F3004C 0D33C572
	v_mfma_f32_16x16x32_fp8_fp8 v[76:79], a[116:117], v[228:229], v[76:79]// 000000007B40: D3F3004C 0D33C974
	v_mfma_f32_16x16x32_fp8_fp8 v[76:79], a[118:119], v[230:231], v[76:79]// 000000007B48: D3F3004C 0D33CD76
	v_mfma_f32_16x16x32_fp8_fp8 v[76:79], a[120:121], v[232:233], v[76:79]// 000000007B50: D3F3004C 0D33D178
	buffer_load_dwordx4 a[28:31], v35, s[24:27], 0 offen offset:3072// 000000007B58: E05C1C00 80861C23
	v_mfma_f32_16x16x32_fp8_fp8 v[76:79], a[122:123], v[234:235], v[76:79]// 000000007B60: D3F3004C 0D33D57A
	v_mfma_f32_16x16x32_fp8_fp8 v[76:79], a[124:125], v[236:237], v[76:79]// 000000007B68: D3F3004C 0D33D97C
	v_mfma_f32_16x16x32_fp8_fp8 v[76:79], a[126:127], v[238:239], v[76:79]// 000000007B70: D3F3004C 0D33DD7E
	s_waitcnt vmcnt(20)                                        // 000000007B78: BF8C4F74
	v_mfma_f32_16x16x32_fp8_fp8 v[80:83], a[128:129], v[208:209], v[80:83]// 000000007B7C: D3F30050 0D43A180
	buffer_load_dwordx4 a[32:35], v36, s[24:27], 0 offen       // 000000007B84: E05C1000 80862024
	v_mfma_f32_16x16x32_fp8_fp8 v[80:83], a[130:131], v[210:211], v[80:83]// 000000007B8C: D3F30050 0D43A582
	v_mfma_f32_16x16x32_fp8_fp8 v[80:83], a[132:133], v[212:213], v[80:83]// 000000007B94: D3F30050 0D43A984
	ds_read_b128 v[176:179], v2                                // 000000007B9C: D9FE0000 B0000002
	v_mfma_f32_16x16x32_fp8_fp8 v[80:83], a[134:135], v[214:215], v[80:83]// 000000007BA4: D3F30050 0D43AD86
	v_mfma_f32_16x16x32_fp8_fp8 v[80:83], a[136:137], v[216:217], v[80:83]// 000000007BAC: D3F30050 0D43B188
	buffer_load_dwordx4 a[36:39], v36, s[24:27], 0 offen offset:1024// 000000007BB4: E05C1400 80862424
	v_mfma_f32_16x16x32_fp8_fp8 v[80:83], a[138:139], v[218:219], v[80:83]// 000000007BBC: D3F30050 0D43B58A
	v_mfma_f32_16x16x32_fp8_fp8 v[80:83], a[140:141], v[220:221], v[80:83]// 000000007BC4: D3F30050 0D43B98C
	ds_read_b128 v[180:183], v2 offset:64                      // 000000007BCC: D9FE0040 B4000002
	v_mfma_f32_16x16x32_fp8_fp8 v[80:83], a[142:143], v[222:223], v[80:83]// 000000007BD4: D3F30050 0D43BD8E
	v_mfma_f32_16x16x32_fp8_fp8 v[84:87], a[128:129], v[224:225], v[84:87]// 000000007BDC: D3F30054 0D53C180
	buffer_load_dwordx4 a[40:43], v36, s[24:27], 0 offen offset:2048// 000000007BE4: E05C1800 80862824
	v_mfma_f32_16x16x32_fp8_fp8 v[84:87], a[130:131], v[226:227], v[84:87]// 000000007BEC: D3F30054 0D53C582
	v_mfma_f32_16x16x32_fp8_fp8 v[84:87], a[132:133], v[228:229], v[84:87]// 000000007BF4: D3F30054 0D53C984
	ds_read_b128 v[184:187], v2 offset:128                     // 000000007BFC: D9FE0080 B8000002
	v_mfma_f32_16x16x32_fp8_fp8 v[84:87], a[134:135], v[230:231], v[84:87]// 000000007C04: D3F30054 0D53CD86
	v_mfma_f32_16x16x32_fp8_fp8 v[84:87], a[136:137], v[232:233], v[84:87]// 000000007C0C: D3F30054 0D53D188
	buffer_load_dwordx4 a[44:47], v36, s[24:27], 0 offen offset:3072// 000000007C14: E05C1C00 80862C24
	v_mfma_f32_16x16x32_fp8_fp8 v[84:87], a[138:139], v[234:235], v[84:87]// 000000007C1C: D3F30054 0D53D58A
	v_mfma_f32_16x16x32_fp8_fp8 v[84:87], a[140:141], v[236:237], v[84:87]// 000000007C24: D3F30054 0D53D98C
	ds_read_b128 v[188:191], v2 offset:192                     // 000000007C2C: D9FE00C0 BC000002
	v_mfma_f32_16x16x32_fp8_fp8 v[84:87], a[142:143], v[238:239], v[84:87]// 000000007C34: D3F30054 0D53DD8E
	s_waitcnt vmcnt(20)                                        // 000000007C3C: BF8C4F74
	v_mfma_f32_16x16x32_fp8_fp8 v[88:91], a[144:145], v[208:209], v[88:91]// 000000007C40: D3F30058 0D63A190
	buffer_load_dwordx4 a[48:51], v37, s[24:27], 0 offen       // 000000007C48: E05C1000 80863025
	v_mfma_f32_16x16x32_fp8_fp8 v[88:91], a[146:147], v[210:211], v[88:91]// 000000007C50: D3F30058 0D63A592
	v_mfma_f32_16x16x32_fp8_fp8 v[88:91], a[148:149], v[212:213], v[88:91]// 000000007C58: D3F30058 0D63A994
	ds_read_b128 v[192:195], v2 offset:1024                    // 000000007C60: D9FE0400 C0000002
	v_mfma_f32_16x16x32_fp8_fp8 v[88:91], a[150:151], v[214:215], v[88:91]// 000000007C68: D3F30058 0D63AD96
	v_mfma_f32_16x16x32_fp8_fp8 v[88:91], a[152:153], v[216:217], v[88:91]// 000000007C70: D3F30058 0D63B198
	buffer_load_dwordx4 a[52:55], v37, s[24:27], 0 offen offset:1024// 000000007C78: E05C1400 80863425
	v_mfma_f32_16x16x32_fp8_fp8 v[88:91], a[154:155], v[218:219], v[88:91]// 000000007C80: D3F30058 0D63B59A
	v_mfma_f32_16x16x32_fp8_fp8 v[88:91], a[156:157], v[220:221], v[88:91]// 000000007C88: D3F30058 0D63B99C
	ds_read_b128 v[196:199], v2 offset:1088                    // 000000007C90: D9FE0440 C4000002
	v_mfma_f32_16x16x32_fp8_fp8 v[88:91], a[158:159], v[222:223], v[88:91]// 000000007C98: D3F30058 0D63BD9E
	v_mfma_f32_16x16x32_fp8_fp8 v[92:95], a[144:145], v[224:225], v[92:95]// 000000007CA0: D3F3005C 0D73C190
	buffer_load_dwordx4 a[56:59], v37, s[24:27], 0 offen offset:2048// 000000007CA8: E05C1800 80863825
	v_mfma_f32_16x16x32_fp8_fp8 v[92:95], a[146:147], v[226:227], v[92:95]// 000000007CB0: D3F3005C 0D73C592
	v_mfma_f32_16x16x32_fp8_fp8 v[92:95], a[148:149], v[228:229], v[92:95]// 000000007CB8: D3F3005C 0D73C994
	ds_read_b128 v[200:203], v2 offset:1152                    // 000000007CC0: D9FE0480 C8000002
	v_mfma_f32_16x16x32_fp8_fp8 v[92:95], a[150:151], v[230:231], v[92:95]// 000000007CC8: D3F3005C 0D73CD96
	v_mfma_f32_16x16x32_fp8_fp8 v[92:95], a[152:153], v[232:233], v[92:95]// 000000007CD0: D3F3005C 0D73D198
	buffer_load_dwordx4 a[60:63], v37, s[24:27], 0 offen offset:3072// 000000007CD8: E05C1C00 80863C25
	v_mfma_f32_16x16x32_fp8_fp8 v[92:95], a[154:155], v[234:235], v[92:95]// 000000007CE0: D3F3005C 0D73D59A
	v_mfma_f32_16x16x32_fp8_fp8 v[92:95], a[156:157], v[236:237], v[92:95]// 000000007CE8: D3F3005C 0D73D99C
	ds_read_b128 v[204:207], v2 offset:1216                    // 000000007CF0: D9FE04C0 CC000002
	v_mfma_f32_16x16x32_fp8_fp8 v[92:95], a[158:159], v[238:239], v[92:95]// 000000007CF8: D3F3005C 0D73DD9E
	s_waitcnt vmcnt(20)                                        // 000000007D00: BF8C4F74
	v_mfma_f32_16x16x32_fp8_fp8 v[96:99], a[160:161], v[208:209], v[96:99]// 000000007D04: D3F30060 0D83A1A0
	buffer_load_dwordx4 a[64:67], v38, s[24:27], 0 offen       // 000000007D0C: E05C1000 80864026
	v_mfma_f32_16x16x32_fp8_fp8 v[96:99], a[162:163], v[210:211], v[96:99]// 000000007D14: D3F30060 0D83A5A2
	v_mfma_f32_16x16x32_fp8_fp8 v[96:99], a[164:165], v[212:213], v[96:99]// 000000007D1C: D3F30060 0D83A9A4
	v_mfma_f32_16x16x32_fp8_fp8 v[96:99], a[166:167], v[214:215], v[96:99]// 000000007D24: D3F30060 0D83ADA6
	v_mfma_f32_16x16x32_fp8_fp8 v[96:99], a[168:169], v[216:217], v[96:99]// 000000007D2C: D3F30060 0D83B1A8
	buffer_load_dwordx4 a[68:71], v38, s[24:27], 0 offen offset:1024// 000000007D34: E05C1400 80864426
	v_mfma_f32_16x16x32_fp8_fp8 v[96:99], a[170:171], v[218:219], v[96:99]// 000000007D3C: D3F30060 0D83B5AA
	v_mfma_f32_16x16x32_fp8_fp8 v[96:99], a[172:173], v[220:221], v[96:99]// 000000007D44: D3F30060 0D83B9AC
	v_mfma_f32_16x16x32_fp8_fp8 v[96:99], a[174:175], v[222:223], v[96:99]// 000000007D4C: D3F30060 0D83BDAE
	v_mfma_f32_16x16x32_fp8_fp8 v[100:103], a[160:161], v[224:225], v[100:103]// 000000007D54: D3F30064 0D93C1A0
	buffer_load_dwordx4 a[72:75], v38, s[24:27], 0 offen offset:2048// 000000007D5C: E05C1800 80864826
	v_mfma_f32_16x16x32_fp8_fp8 v[100:103], a[162:163], v[226:227], v[100:103]// 000000007D64: D3F30064 0D93C5A2
	v_mfma_f32_16x16x32_fp8_fp8 v[100:103], a[164:165], v[228:229], v[100:103]// 000000007D6C: D3F30064 0D93C9A4
	v_mfma_f32_16x16x32_fp8_fp8 v[100:103], a[166:167], v[230:231], v[100:103]// 000000007D74: D3F30064 0D93CDA6
	v_mfma_f32_16x16x32_fp8_fp8 v[100:103], a[168:169], v[232:233], v[100:103]// 000000007D7C: D3F30064 0D93D1A8
	buffer_load_dwordx4 a[76:79], v38, s[24:27], 0 offen offset:3072// 000000007D84: E05C1C00 80864C26
	v_mfma_f32_16x16x32_fp8_fp8 v[100:103], a[170:171], v[234:235], v[100:103]// 000000007D8C: D3F30064 0D93D5AA
	v_mfma_f32_16x16x32_fp8_fp8 v[100:103], a[172:173], v[236:237], v[100:103]// 000000007D94: D3F30064 0D93D9AC
	v_mfma_f32_16x16x32_fp8_fp8 v[100:103], a[174:175], v[238:239], v[100:103]// 000000007D9C: D3F30064 0D93DDAE
	s_waitcnt vmcnt(20)                                        // 000000007DA4: BF8C4F74
	v_mfma_f32_16x16x32_fp8_fp8 v[104:107], a[176:177], v[208:209], v[104:107]// 000000007DA8: D3F30068 0DA3A1B0
	buffer_load_dwordx4 a[80:83], v39, s[24:27], 0 offen       // 000000007DB0: E05C1000 80865027
	v_mfma_f32_16x16x32_fp8_fp8 v[104:107], a[178:179], v[210:211], v[104:107]// 000000007DB8: D3F30068 0DA3A5B2
	v_mfma_f32_16x16x32_fp8_fp8 v[104:107], a[180:181], v[212:213], v[104:107]// 000000007DC0: D3F30068 0DA3A9B4
	v_mfma_f32_16x16x32_fp8_fp8 v[104:107], a[182:183], v[214:215], v[104:107]// 000000007DC8: D3F30068 0DA3ADB6
	v_mfma_f32_16x16x32_fp8_fp8 v[104:107], a[184:185], v[216:217], v[104:107]// 000000007DD0: D3F30068 0DA3B1B8
	buffer_load_dwordx4 a[84:87], v39, s[24:27], 0 offen offset:1024// 000000007DD8: E05C1400 80865427
	v_mfma_f32_16x16x32_fp8_fp8 v[104:107], a[186:187], v[218:219], v[104:107]// 000000007DE0: D3F30068 0DA3B5BA
	v_mfma_f32_16x16x32_fp8_fp8 v[104:107], a[188:189], v[220:221], v[104:107]// 000000007DE8: D3F30068 0DA3B9BC
	v_mfma_f32_16x16x32_fp8_fp8 v[104:107], a[190:191], v[222:223], v[104:107]// 000000007DF0: D3F30068 0DA3BDBE
	v_mfma_f32_16x16x32_fp8_fp8 v[108:111], a[176:177], v[224:225], v[108:111]// 000000007DF8: D3F3006C 0DB3C1B0
	buffer_load_dwordx4 a[88:91], v39, s[24:27], 0 offen offset:2048// 000000007E00: E05C1800 80865827
	v_mfma_f32_16x16x32_fp8_fp8 v[108:111], a[178:179], v[226:227], v[108:111]// 000000007E08: D3F3006C 0DB3C5B2
	v_mfma_f32_16x16x32_fp8_fp8 v[108:111], a[180:181], v[228:229], v[108:111]// 000000007E10: D3F3006C 0DB3C9B4
	v_mfma_f32_16x16x32_fp8_fp8 v[108:111], a[182:183], v[230:231], v[108:111]// 000000007E18: D3F3006C 0DB3CDB6
	v_mfma_f32_16x16x32_fp8_fp8 v[108:111], a[184:185], v[232:233], v[108:111]// 000000007E20: D3F3006C 0DB3D1B8
	buffer_load_dwordx4 a[92:95], v39, s[24:27], 0 offen offset:3072// 000000007E28: E05C1C00 80865C27
	v_mfma_f32_16x16x32_fp8_fp8 v[108:111], a[186:187], v[234:235], v[108:111]// 000000007E30: D3F3006C 0DB3D5BA
	v_mfma_f32_16x16x32_fp8_fp8 v[108:111], a[188:189], v[236:237], v[108:111]// 000000007E38: D3F3006C 0DB3D9BC
	v_mfma_f32_16x16x32_fp8_fp8 v[108:111], a[190:191], v[238:239], v[108:111]// 000000007E40: D3F3006C 0DB3DDBE
	s_add_u32 s60, 0x200, s80                                  // 000000007E48: 803C50FF 00000200
	s_cmp_lt_u32 s60, s81                                      // 000000007E50: BF0A513C
	s_cselect_b32 s57, s57, 0                                  // 000000007E54: 85398039
	s_add_u32 s60, 0x200, s80                                  // 000000007E58: 803C50FF 00000200
	s_cmp_lt_u32 s60, s81                                      // 000000007E60: BF0A513C
	s_cselect_b32 s58, s58, 0                                  // 000000007E64: 853A803A
	s_add_u32 s20, s57, s20                                    // 000000007E68: 80141439
	s_addc_u32 s21, 0, s21                                     // 000000007E6C: 82151580
	s_add_u32 s24, s58, s24                                    // 000000007E70: 8018183A
	s_addc_u32 s25, 0, s25                                     // 000000007E74: 82191980
	s_add_u32 s92, s90, s92                                    // 000000007E78: 805C5C5A
	s_addc_u32 s93, 0, s93                                     // 000000007E7C: 825D5D80
	s_addk_i32 s80, 0x100                                      // 000000007E80: B7500100
	s_cmp_lt_i32 s80, s81                                      // 000000007E84: BF045150
	s_cbranch_scc0 label_1424                                  // 000000007E88: BF840001
	s_branch label_0FCB                                        // 000000007E8C: BF82FBA7

0000000000007e90 <label_1424>:
	s_mov_b32 s36, -1                                          // 000000007E90: BEA400C1
	s_mov_b32 s37, -1                                          // 000000007E94: BEA500C1
	s_mov_b64 s[60:61], 0                                      // 000000007E98: BEBC0180
	s_cmp_lt_u32 s82, s66                                      // 000000007E9C: BF0A4252
	s_cselect_b64 s[20:21], s[36:37], s[60:61]                 // 000000007EA0: 85943C24
	s_cmp_lt_u32 s83, s66                                      // 000000007EA4: BF0A4253
	s_cselect_b64 s[22:23], s[36:37], s[60:61]                 // 000000007EA8: 85963C24
	s_cmp_lt_u32 s84, s66                                      // 000000007EAC: BF0A4254
	s_cselect_b64 s[24:25], s[36:37], s[60:61]                 // 000000007EB0: 85983C24
	s_cmp_lt_u32 s85, s66                                      // 000000007EB4: BF0A4255
	s_cselect_b64 s[26:27], s[36:37], s[60:61]                 // 000000007EB8: 859A3C24
	s_cmp_lt_u32 s86, s66                                      // 000000007EBC: BF0A4256
	s_cselect_b64 s[28:29], s[36:37], s[60:61]                 // 000000007EC0: 859C3C24
	s_cmp_lt_u32 s87, s66                                      // 000000007EC4: BF0A4257
	s_cselect_b64 s[30:31], s[36:37], s[60:61]                 // 000000007EC8: 859E3C24
	s_cmp_lt_u32 s88, s66                                      // 000000007ECC: BF0A4258
	s_cselect_b64 s[32:33], s[36:37], s[60:61]                 // 000000007ED0: 85A03C24
	s_cmp_lt_u32 s89, s66                                      // 000000007ED4: BF0A4259
	s_cselect_b64 s[34:35], s[36:37], s[60:61]                 // 000000007ED8: 85A23C24
	v_mul_f32_e32 v128, v14, v128                              // 000000007EDC: 0B01010E
	v_mul_f32_e32 v129, v14, v129                              // 000000007EE0: 0B03030E
	v_mul_f32_e32 v130, v14, v130                              // 000000007EE4: 0B05050E
	v_mul_f32_e32 v131, v14, v131                              // 000000007EE8: 0B07070E
	v_mul_f32_dpp v128, v16, v128 row_newbcast:0 row_mask:0xf bank_mask:0xf// 000000007EEC: 0B0100FA FF015010
	v_mul_f32_dpp v129, v16, v129 row_newbcast:1 row_mask:0xf bank_mask:0xf// 000000007EF4: 0B0302FA FF015110
	v_mul_f32_dpp v130, v16, v130 row_newbcast:2 row_mask:0xf bank_mask:0xf// 000000007EFC: 0B0504FA FF015210
	v_mul_f32_dpp v131, v16, v131 row_newbcast:3 row_mask:0xf bank_mask:0xf// 000000007F04: 0B0706FA FF015310
	v_mul_f32_e32 v132, v15, v132                              // 000000007F0C: 0B09090F
	v_mul_f32_e32 v133, v15, v133                              // 000000007F10: 0B0B0B0F
	v_mul_f32_e32 v134, v15, v134                              // 000000007F14: 0B0D0D0F
	v_mul_f32_e32 v135, v15, v135                              // 000000007F18: 0B0F0F0F
	v_mul_f32_dpp v132, v16, v132 row_newbcast:0 row_mask:0xf bank_mask:0xf// 000000007F1C: 0B0908FA FF015010
	v_mul_f32_dpp v133, v16, v133 row_newbcast:1 row_mask:0xf bank_mask:0xf// 000000007F24: 0B0B0AFA FF015110
	v_mul_f32_dpp v134, v16, v134 row_newbcast:2 row_mask:0xf bank_mask:0xf// 000000007F2C: 0B0D0CFA FF015210
	v_mul_f32_dpp v135, v16, v135 row_newbcast:3 row_mask:0xf bank_mask:0xf// 000000007F34: 0B0F0EFA FF015310
	v_mul_f32_e32 v136, v14, v136                              // 000000007F3C: 0B11110E
	v_mul_f32_e32 v137, v14, v137                              // 000000007F40: 0B13130E
	v_mul_f32_e32 v138, v14, v138                              // 000000007F44: 0B15150E
	v_mul_f32_e32 v139, v14, v139                              // 000000007F48: 0B17170E
	v_mul_f32_dpp v136, v16, v136 row_newbcast:4 row_mask:0xf bank_mask:0xf// 000000007F4C: 0B1110FA FF015410
	v_mul_f32_dpp v137, v16, v137 row_newbcast:5 row_mask:0xf bank_mask:0xf// 000000007F54: 0B1312FA FF015510
	v_mul_f32_dpp v138, v16, v138 row_newbcast:6 row_mask:0xf bank_mask:0xf// 000000007F5C: 0B1514FA FF015610
	v_mul_f32_dpp v139, v16, v139 row_newbcast:7 row_mask:0xf bank_mask:0xf// 000000007F64: 0B1716FA FF015710
	v_mul_f32_e32 v140, v15, v140                              // 000000007F6C: 0B19190F
	v_mul_f32_e32 v141, v15, v141                              // 000000007F70: 0B1B1B0F
	v_mul_f32_e32 v142, v15, v142                              // 000000007F74: 0B1D1D0F
	v_mul_f32_e32 v143, v15, v143                              // 000000007F78: 0B1F1F0F
	v_mul_f32_dpp v140, v16, v140 row_newbcast:4 row_mask:0xf bank_mask:0xf// 000000007F7C: 0B1918FA FF015410
	v_mul_f32_dpp v141, v16, v141 row_newbcast:5 row_mask:0xf bank_mask:0xf// 000000007F84: 0B1B1AFA FF015510
	v_mul_f32_dpp v142, v16, v142 row_newbcast:6 row_mask:0xf bank_mask:0xf// 000000007F8C: 0B1D1CFA FF015610
	v_mul_f32_dpp v143, v16, v143 row_newbcast:7 row_mask:0xf bank_mask:0xf// 000000007F94: 0B1F1EFA FF015710
	v_mul_f32_e32 v144, v14, v144                              // 000000007F9C: 0B21210E
	v_mul_f32_e32 v145, v14, v145                              // 000000007FA0: 0B23230E
	v_mul_f32_e32 v146, v14, v146                              // 000000007FA4: 0B25250E
	v_mul_f32_e32 v147, v14, v147                              // 000000007FA8: 0B27270E
	v_mul_f32_dpp v144, v16, v144 row_newbcast:8 row_mask:0xf bank_mask:0xf// 000000007FAC: 0B2120FA FF015810
	v_mul_f32_dpp v145, v16, v145 row_newbcast:9 row_mask:0xf bank_mask:0xf// 000000007FB4: 0B2322FA FF015910
	v_mul_f32_dpp v146, v16, v146 row_newbcast:10 row_mask:0xf bank_mask:0xf// 000000007FBC: 0B2524FA FF015A10
	v_mul_f32_dpp v147, v16, v147 row_newbcast:11 row_mask:0xf bank_mask:0xf// 000000007FC4: 0B2726FA FF015B10
	v_mul_f32_e32 v148, v15, v148                              // 000000007FCC: 0B29290F
	v_mul_f32_e32 v149, v15, v149                              // 000000007FD0: 0B2B2B0F
	v_mul_f32_e32 v150, v15, v150                              // 000000007FD4: 0B2D2D0F
	v_mul_f32_e32 v151, v15, v151                              // 000000007FD8: 0B2F2F0F
	v_mul_f32_dpp v148, v16, v148 row_newbcast:8 row_mask:0xf bank_mask:0xf// 000000007FDC: 0B2928FA FF015810
	v_mul_f32_dpp v149, v16, v149 row_newbcast:9 row_mask:0xf bank_mask:0xf// 000000007FE4: 0B2B2AFA FF015910
	v_mul_f32_dpp v150, v16, v150 row_newbcast:10 row_mask:0xf bank_mask:0xf// 000000007FEC: 0B2D2CFA FF015A10
	v_mul_f32_dpp v151, v16, v151 row_newbcast:11 row_mask:0xf bank_mask:0xf// 000000007FF4: 0B2F2EFA FF015B10
	v_mul_f32_e32 v152, v14, v152                              // 000000007FFC: 0B31310E
	v_mul_f32_e32 v153, v14, v153                              // 000000008000: 0B33330E
	v_mul_f32_e32 v154, v14, v154                              // 000000008004: 0B35350E
	v_mul_f32_e32 v155, v14, v155                              // 000000008008: 0B37370E
	v_mul_f32_dpp v152, v16, v152 row_newbcast:12 row_mask:0xf bank_mask:0xf// 00000000800C: 0B3130FA FF015C10
	v_mul_f32_dpp v153, v16, v153 row_newbcast:13 row_mask:0xf bank_mask:0xf// 000000008014: 0B3332FA FF015D10
	v_mul_f32_dpp v154, v16, v154 row_newbcast:14 row_mask:0xf bank_mask:0xf// 00000000801C: 0B3534FA FF015E10
	v_mul_f32_dpp v155, v16, v155 row_newbcast:15 row_mask:0xf bank_mask:0xf// 000000008024: 0B3736FA FF015F10
	v_mul_f32_e32 v156, v15, v156                              // 00000000802C: 0B39390F
	v_mul_f32_e32 v157, v15, v157                              // 000000008030: 0B3B3B0F
	v_mul_f32_e32 v158, v15, v158                              // 000000008034: 0B3D3D0F
	v_mul_f32_e32 v159, v15, v159                              // 000000008038: 0B3F3F0F
	v_mul_f32_dpp v156, v16, v156 row_newbcast:12 row_mask:0xf bank_mask:0xf// 00000000803C: 0B3938FA FF015C10
	v_mul_f32_dpp v157, v16, v157 row_newbcast:13 row_mask:0xf bank_mask:0xf// 000000008044: 0B3B3AFA FF015D10
	v_mul_f32_dpp v158, v16, v158 row_newbcast:14 row_mask:0xf bank_mask:0xf// 00000000804C: 0B3D3CFA FF015E10
	v_mul_f32_dpp v159, v16, v159 row_newbcast:15 row_mask:0xf bank_mask:0xf// 000000008054: 0B3F3EFA FF015F10
	v_mul_f32_e32 v160, v14, v160                              // 00000000805C: 0B41410E
	v_mul_f32_e32 v161, v14, v161                              // 000000008060: 0B43430E
	v_mul_f32_e32 v162, v14, v162                              // 000000008064: 0B45450E
	v_mul_f32_e32 v163, v14, v163                              // 000000008068: 0B47470E
	v_mul_f32_dpp v160, v17, v160 row_newbcast:0 row_mask:0xf bank_mask:0xf// 00000000806C: 0B4140FA FF015011
	v_mul_f32_dpp v161, v17, v161 row_newbcast:1 row_mask:0xf bank_mask:0xf// 000000008074: 0B4342FA FF015111
	v_mul_f32_dpp v162, v17, v162 row_newbcast:2 row_mask:0xf bank_mask:0xf// 00000000807C: 0B4544FA FF015211
	v_mul_f32_dpp v163, v17, v163 row_newbcast:3 row_mask:0xf bank_mask:0xf// 000000008084: 0B4746FA FF015311
	v_mul_f32_e32 v164, v15, v164                              // 00000000808C: 0B49490F
	v_mul_f32_e32 v165, v15, v165                              // 000000008090: 0B4B4B0F
	v_mul_f32_e32 v166, v15, v166                              // 000000008094: 0B4D4D0F
	v_mul_f32_e32 v167, v15, v167                              // 000000008098: 0B4F4F0F
	v_mul_f32_dpp v164, v17, v164 row_newbcast:0 row_mask:0xf bank_mask:0xf// 00000000809C: 0B4948FA FF015011
	v_mul_f32_dpp v165, v17, v165 row_newbcast:1 row_mask:0xf bank_mask:0xf// 0000000080A4: 0B4B4AFA FF015111
	v_mul_f32_dpp v166, v17, v166 row_newbcast:2 row_mask:0xf bank_mask:0xf// 0000000080AC: 0B4D4CFA FF015211
	v_mul_f32_dpp v167, v17, v167 row_newbcast:3 row_mask:0xf bank_mask:0xf// 0000000080B4: 0B4F4EFA FF015311
	v_mul_f32_e32 v168, v14, v168                              // 0000000080BC: 0B51510E
	v_mul_f32_e32 v169, v14, v169                              // 0000000080C0: 0B53530E
	v_mul_f32_e32 v170, v14, v170                              // 0000000080C4: 0B55550E
	v_mul_f32_e32 v171, v14, v171                              // 0000000080C8: 0B57570E
	v_mul_f32_dpp v168, v17, v168 row_newbcast:4 row_mask:0xf bank_mask:0xf// 0000000080CC: 0B5150FA FF015411
	v_mul_f32_dpp v169, v17, v169 row_newbcast:5 row_mask:0xf bank_mask:0xf// 0000000080D4: 0B5352FA FF015511
	v_mul_f32_dpp v170, v17, v170 row_newbcast:6 row_mask:0xf bank_mask:0xf// 0000000080DC: 0B5554FA FF015611
	v_mul_f32_dpp v171, v17, v171 row_newbcast:7 row_mask:0xf bank_mask:0xf// 0000000080E4: 0B5756FA FF015711
	v_mul_f32_e32 v172, v15, v172                              // 0000000080EC: 0B59590F
	v_mul_f32_e32 v173, v15, v173                              // 0000000080F0: 0B5B5B0F
	v_mul_f32_e32 v174, v15, v174                              // 0000000080F4: 0B5D5D0F
	v_mul_f32_e32 v175, v15, v175                              // 0000000080F8: 0B5F5F0F
	v_mul_f32_dpp v172, v17, v172 row_newbcast:4 row_mask:0xf bank_mask:0xf// 0000000080FC: 0B5958FA FF015411
	v_mul_f32_dpp v173, v17, v173 row_newbcast:5 row_mask:0xf bank_mask:0xf// 000000008104: 0B5B5AFA FF015511
	v_mul_f32_dpp v174, v17, v174 row_newbcast:6 row_mask:0xf bank_mask:0xf// 00000000810C: 0B5D5CFA FF015611
	v_mul_f32_dpp v175, v17, v175 row_newbcast:7 row_mask:0xf bank_mask:0xf// 000000008114: 0B5F5EFA FF015711
	v_mul_f32_e32 v64, v14, v64                                // 00000000811C: 0A80810E
	v_mul_f32_e32 v65, v14, v65                                // 000000008120: 0A82830E
	v_mul_f32_e32 v66, v14, v66                                // 000000008124: 0A84850E
	v_mul_f32_e32 v67, v14, v67                                // 000000008128: 0A86870E
	v_mul_f32_dpp v64, v48, v64 row_newbcast:0 row_mask:0xf bank_mask:0xf// 00000000812C: 0A8080FA FF015030
	v_mul_f32_dpp v65, v48, v65 row_newbcast:1 row_mask:0xf bank_mask:0xf// 000000008134: 0A8282FA FF015130
	v_mul_f32_dpp v66, v48, v66 row_newbcast:2 row_mask:0xf bank_mask:0xf// 00000000813C: 0A8484FA FF015230
	v_mul_f32_dpp v67, v48, v67 row_newbcast:3 row_mask:0xf bank_mask:0xf// 000000008144: 0A8686FA FF015330
	v_mul_f32_e32 v68, v15, v68                                // 00000000814C: 0A88890F
	v_mul_f32_e32 v69, v15, v69                                // 000000008150: 0A8A8B0F
	v_mul_f32_e32 v70, v15, v70                                // 000000008154: 0A8C8D0F
	v_mul_f32_e32 v71, v15, v71                                // 000000008158: 0A8E8F0F
	v_mul_f32_dpp v68, v48, v68 row_newbcast:0 row_mask:0xf bank_mask:0xf// 00000000815C: 0A8888FA FF015030
	v_mul_f32_dpp v69, v48, v69 row_newbcast:1 row_mask:0xf bank_mask:0xf// 000000008164: 0A8A8AFA FF015130
	v_mul_f32_dpp v70, v48, v70 row_newbcast:2 row_mask:0xf bank_mask:0xf// 00000000816C: 0A8C8CFA FF015230
	v_mul_f32_dpp v71, v48, v71 row_newbcast:3 row_mask:0xf bank_mask:0xf// 000000008174: 0A8E8EFA FF015330
	v_mul_f32_e32 v72, v14, v72                                // 00000000817C: 0A90910E
	v_mul_f32_e32 v73, v14, v73                                // 000000008180: 0A92930E
	v_mul_f32_e32 v74, v14, v74                                // 000000008184: 0A94950E
	v_mul_f32_e32 v75, v14, v75                                // 000000008188: 0A96970E
	v_mul_f32_dpp v72, v48, v72 row_newbcast:4 row_mask:0xf bank_mask:0xf// 00000000818C: 0A9090FA FF015430
	v_mul_f32_dpp v73, v48, v73 row_newbcast:5 row_mask:0xf bank_mask:0xf// 000000008194: 0A9292FA FF015530
	v_mul_f32_dpp v74, v48, v74 row_newbcast:6 row_mask:0xf bank_mask:0xf// 00000000819C: 0A9494FA FF015630
	v_mul_f32_dpp v75, v48, v75 row_newbcast:7 row_mask:0xf bank_mask:0xf// 0000000081A4: 0A9696FA FF015730
	v_mul_f32_e32 v76, v15, v76                                // 0000000081AC: 0A98990F
	v_mul_f32_e32 v77, v15, v77                                // 0000000081B0: 0A9A9B0F
	v_mul_f32_e32 v78, v15, v78                                // 0000000081B4: 0A9C9D0F
	v_mul_f32_e32 v79, v15, v79                                // 0000000081B8: 0A9E9F0F
	v_mul_f32_dpp v76, v48, v76 row_newbcast:4 row_mask:0xf bank_mask:0xf// 0000000081BC: 0A9898FA FF015430
	v_mul_f32_dpp v77, v48, v77 row_newbcast:5 row_mask:0xf bank_mask:0xf// 0000000081C4: 0A9A9AFA FF015530
	v_mul_f32_dpp v78, v48, v78 row_newbcast:6 row_mask:0xf bank_mask:0xf// 0000000081CC: 0A9C9CFA FF015630
	v_mul_f32_dpp v79, v48, v79 row_newbcast:7 row_mask:0xf bank_mask:0xf// 0000000081D4: 0A9E9EFA FF015730
	v_mul_f32_e32 v80, v14, v80                                // 0000000081DC: 0AA0A10E
	v_mul_f32_e32 v81, v14, v81                                // 0000000081E0: 0AA2A30E
	v_mul_f32_e32 v82, v14, v82                                // 0000000081E4: 0AA4A50E
	v_mul_f32_e32 v83, v14, v83                                // 0000000081E8: 0AA6A70E
	v_mul_f32_dpp v80, v48, v80 row_newbcast:8 row_mask:0xf bank_mask:0xf// 0000000081EC: 0AA0A0FA FF015830
	v_mul_f32_dpp v81, v48, v81 row_newbcast:9 row_mask:0xf bank_mask:0xf// 0000000081F4: 0AA2A2FA FF015930
	v_mul_f32_dpp v82, v48, v82 row_newbcast:10 row_mask:0xf bank_mask:0xf// 0000000081FC: 0AA4A4FA FF015A30
	v_mul_f32_dpp v83, v48, v83 row_newbcast:11 row_mask:0xf bank_mask:0xf// 000000008204: 0AA6A6FA FF015B30
	v_mul_f32_e32 v84, v15, v84                                // 00000000820C: 0AA8A90F
	v_mul_f32_e32 v85, v15, v85                                // 000000008210: 0AAAAB0F
	v_mul_f32_e32 v86, v15, v86                                // 000000008214: 0AACAD0F
	v_mul_f32_e32 v87, v15, v87                                // 000000008218: 0AAEAF0F
	v_mul_f32_dpp v84, v48, v84 row_newbcast:8 row_mask:0xf bank_mask:0xf// 00000000821C: 0AA8A8FA FF015830
	v_mul_f32_dpp v85, v48, v85 row_newbcast:9 row_mask:0xf bank_mask:0xf// 000000008224: 0AAAAAFA FF015930
	v_mul_f32_dpp v86, v48, v86 row_newbcast:10 row_mask:0xf bank_mask:0xf// 00000000822C: 0AACACFA FF015A30
	v_mul_f32_dpp v87, v48, v87 row_newbcast:11 row_mask:0xf bank_mask:0xf// 000000008234: 0AAEAEFA FF015B30
	v_mul_f32_e32 v88, v14, v88                                // 00000000823C: 0AB0B10E
	v_mul_f32_e32 v89, v14, v89                                // 000000008240: 0AB2B30E
	v_mul_f32_e32 v90, v14, v90                                // 000000008244: 0AB4B50E
	v_mul_f32_e32 v91, v14, v91                                // 000000008248: 0AB6B70E
	v_mul_f32_dpp v88, v48, v88 row_newbcast:12 row_mask:0xf bank_mask:0xf// 00000000824C: 0AB0B0FA FF015C30
	v_mul_f32_dpp v89, v48, v89 row_newbcast:13 row_mask:0xf bank_mask:0xf// 000000008254: 0AB2B2FA FF015D30
	v_mul_f32_dpp v90, v48, v90 row_newbcast:14 row_mask:0xf bank_mask:0xf// 00000000825C: 0AB4B4FA FF015E30
	v_mul_f32_dpp v91, v48, v91 row_newbcast:15 row_mask:0xf bank_mask:0xf// 000000008264: 0AB6B6FA FF015F30
	v_mul_f32_e32 v92, v15, v92                                // 00000000826C: 0AB8B90F
	v_mul_f32_e32 v93, v15, v93                                // 000000008270: 0ABABB0F
	v_mul_f32_e32 v94, v15, v94                                // 000000008274: 0ABCBD0F
	v_mul_f32_e32 v95, v15, v95                                // 000000008278: 0ABEBF0F
	v_mul_f32_dpp v92, v48, v92 row_newbcast:12 row_mask:0xf bank_mask:0xf// 00000000827C: 0AB8B8FA FF015C30
	v_mul_f32_dpp v93, v48, v93 row_newbcast:13 row_mask:0xf bank_mask:0xf// 000000008284: 0ABABAFA FF015D30
	v_mul_f32_dpp v94, v48, v94 row_newbcast:14 row_mask:0xf bank_mask:0xf// 00000000828C: 0ABCBCFA FF015E30
	v_mul_f32_dpp v95, v48, v95 row_newbcast:15 row_mask:0xf bank_mask:0xf// 000000008294: 0ABEBEFA FF015F30
	v_mul_f32_e32 v96, v14, v96                                // 00000000829C: 0AC0C10E
	v_mul_f32_e32 v97, v14, v97                                // 0000000082A0: 0AC2C30E
	v_mul_f32_e32 v98, v14, v98                                // 0000000082A4: 0AC4C50E
	v_mul_f32_e32 v99, v14, v99                                // 0000000082A8: 0AC6C70E
	v_mul_f32_dpp v96, v49, v96 row_newbcast:0 row_mask:0xf bank_mask:0xf// 0000000082AC: 0AC0C0FA FF015031
	v_mul_f32_dpp v97, v49, v97 row_newbcast:1 row_mask:0xf bank_mask:0xf// 0000000082B4: 0AC2C2FA FF015131
	v_mul_f32_dpp v98, v49, v98 row_newbcast:2 row_mask:0xf bank_mask:0xf// 0000000082BC: 0AC4C4FA FF015231
	v_mul_f32_dpp v99, v49, v99 row_newbcast:3 row_mask:0xf bank_mask:0xf// 0000000082C4: 0AC6C6FA FF015331
	v_mul_f32_e32 v100, v15, v100                              // 0000000082CC: 0AC8C90F
	v_mul_f32_e32 v101, v15, v101                              // 0000000082D0: 0ACACB0F
	v_mul_f32_e32 v102, v15, v102                              // 0000000082D4: 0ACCCD0F
	v_mul_f32_e32 v103, v15, v103                              // 0000000082D8: 0ACECF0F
	v_mul_f32_dpp v100, v49, v100 row_newbcast:0 row_mask:0xf bank_mask:0xf// 0000000082DC: 0AC8C8FA FF015031
	v_mul_f32_dpp v101, v49, v101 row_newbcast:1 row_mask:0xf bank_mask:0xf// 0000000082E4: 0ACACAFA FF015131
	v_mul_f32_dpp v102, v49, v102 row_newbcast:2 row_mask:0xf bank_mask:0xf// 0000000082EC: 0ACCCCFA FF015231
	v_mul_f32_dpp v103, v49, v103 row_newbcast:3 row_mask:0xf bank_mask:0xf// 0000000082F4: 0ACECEFA FF015331
	v_mul_f32_e32 v104, v14, v104                              // 0000000082FC: 0AD0D10E
	v_mul_f32_e32 v105, v14, v105                              // 000000008300: 0AD2D30E
	v_mul_f32_e32 v106, v14, v106                              // 000000008304: 0AD4D50E
	v_mul_f32_e32 v107, v14, v107                              // 000000008308: 0AD6D70E
	v_mul_f32_dpp v104, v49, v104 row_newbcast:4 row_mask:0xf bank_mask:0xf// 00000000830C: 0AD0D0FA FF015431
	v_mul_f32_dpp v105, v49, v105 row_newbcast:5 row_mask:0xf bank_mask:0xf// 000000008314: 0AD2D2FA FF015531
	v_mul_f32_dpp v106, v49, v106 row_newbcast:6 row_mask:0xf bank_mask:0xf// 00000000831C: 0AD4D4FA FF015631
	v_mul_f32_dpp v107, v49, v107 row_newbcast:7 row_mask:0xf bank_mask:0xf// 000000008324: 0AD6D6FA FF015731
	v_mul_f32_e32 v108, v15, v108                              // 00000000832C: 0AD8D90F
	v_mul_f32_e32 v109, v15, v109                              // 000000008330: 0ADADB0F
	v_mul_f32_e32 v110, v15, v110                              // 000000008334: 0ADCDD0F
	v_mul_f32_e32 v111, v15, v111                              // 000000008338: 0ADEDF0F
	v_mul_f32_dpp v108, v49, v108 row_newbcast:4 row_mask:0xf bank_mask:0xf// 00000000833C: 0AD8D8FA FF015431
	v_mul_f32_dpp v109, v49, v109 row_newbcast:5 row_mask:0xf bank_mask:0xf// 000000008344: 0ADADAFA FF015531
	v_mul_f32_dpp v110, v49, v110 row_newbcast:6 row_mask:0xf bank_mask:0xf// 00000000834C: 0ADCDCFA FF015631
	v_mul_f32_dpp v111, v49, v111 row_newbcast:7 row_mask:0xf bank_mask:0xf// 000000008354: 0ADEDEFA FF015731
	s_waitcnt vmcnt(20)                                        // 00000000835C: BF8C4F74
	buffer_load_dwordx4 a[0:3], v40, s[12:15], 0 offen         // 000000008360: E05C1000 80830028
	v_mul_f32_e64 v50, -v128, s6                               // 000000008368: D1050032 20000D80
	v_mul_f32_e64 v51, -v129, s6                               // 000000008370: D1050033 20000D81
	v_mul_f32_e64 v52, -v130, s6                               // 000000008378: D1050034 20000D82
	v_mul_f32_e64 v53, -v131, s6                               // 000000008380: D1050035 20000D83
	v_exp_f32_e32 v50, v50                                     // 000000008388: 7E644132
	v_exp_f32_e32 v51, v51                                     // 00000000838C: 7E664133
	v_exp_f32_e32 v52, v52                                     // 000000008390: 7E684134
	v_exp_f32_e32 v53, v53                                     // 000000008394: 7E6A4135
	buffer_load_dwordx4 a[4:7], v41, s[12:15], 0 offen         // 000000008398: E05C1000 80830429
	v_add_f32_e64 v50, v50, 1.0                                // 0000000083A0: D1010032 0001E532
	v_add_f32_e64 v51, v51, 1.0                                // 0000000083A8: D1010033 0001E533
	v_add_f32_e64 v52, v52, 1.0                                // 0000000083B0: D1010034 0001E534
	v_add_f32_e64 v53, v53, 1.0                                // 0000000083B8: D1010035 0001E535
	v_rcp_f32_e32 v50, v50                                     // 0000000083C0: 7E644532
	v_rcp_f32_e32 v51, v51                                     // 0000000083C4: 7E664533
	v_rcp_f32_e32 v52, v52                                     // 0000000083C8: 7E684534
	v_rcp_f32_e32 v53, v53                                     // 0000000083CC: 7E6A4535
	v_mul_f32_e32 v128, v128, v50                              // 0000000083D0: 0B006580
	v_mul_f32_e32 v129, v129, v51                              // 0000000083D4: 0B026781
	v_mul_f32_e32 v130, v130, v52                              // 0000000083D8: 0B046982
	v_mul_f32_e32 v131, v131, v53                              // 0000000083DC: 0B066B83
	v_mul_f32_e32 v128, v128, v64                              // 0000000083E0: 0B008180
	v_mul_f32_e32 v129, v129, v65                              // 0000000083E4: 0B028381
	v_mul_f32_e32 v130, v130, v66                              // 0000000083E8: 0B048582
	v_mul_f32_e32 v131, v131, v67                              // 0000000083EC: 0B068783
	buffer_load_dwordx4 a[8:11], v42, s[12:15], 0 offen        // 0000000083F0: E05C1000 8083082A
	v_mul_f32_e64 v50, -v132, s6                               // 0000000083F8: D1050032 20000D84
	v_mul_f32_e64 v51, -v133, s6                               // 000000008400: D1050033 20000D85
	v_mul_f32_e64 v52, -v134, s6                               // 000000008408: D1050034 20000D86
	v_mul_f32_e64 v53, -v135, s6                               // 000000008410: D1050035 20000D87
	v_exp_f32_e32 v50, v50                                     // 000000008418: 7E644132
	v_exp_f32_e32 v51, v51                                     // 00000000841C: 7E664133
	v_exp_f32_e32 v52, v52                                     // 000000008420: 7E684134
	v_exp_f32_e32 v53, v53                                     // 000000008424: 7E6A4135
	buffer_load_dwordx4 a[12:15], v43, s[12:15], 0 offen       // 000000008428: E05C1000 80830C2B
	s_add_u32 s12, s78, s12                                    // 000000008430: 800C0C4E
	s_addc_u32 s13, 0, s13                                     // 000000008434: 820D0D80
	v_add_f32_e64 v50, v50, 1.0                                // 000000008438: D1010032 0001E532
	v_add_f32_e64 v51, v51, 1.0                                // 000000008440: D1010033 0001E533
	v_add_f32_e64 v52, v52, 1.0                                // 000000008448: D1010034 0001E534
	v_add_f32_e64 v53, v53, 1.0                                // 000000008450: D1010035 0001E535
	v_rcp_f32_e32 v50, v50                                     // 000000008458: 7E644532
	v_rcp_f32_e32 v51, v51                                     // 00000000845C: 7E664533
	v_rcp_f32_e32 v52, v52                                     // 000000008460: 7E684534
	v_rcp_f32_e32 v53, v53                                     // 000000008464: 7E6A4535
	v_mul_f32_e32 v132, v132, v50                              // 000000008468: 0B086584
	v_mul_f32_e32 v133, v133, v51                              // 00000000846C: 0B0A6785
	v_mul_f32_e32 v134, v134, v52                              // 000000008470: 0B0C6986
	v_mul_f32_e32 v135, v135, v53                              // 000000008474: 0B0E6B87
	v_mul_f32_e32 v132, v132, v68                              // 000000008478: 0B088984
	v_mul_f32_e32 v133, v133, v69                              // 00000000847C: 0B0A8B85
	v_mul_f32_e32 v134, v134, v70                              // 000000008480: 0B0C8D86
	v_mul_f32_e32 v135, v135, v71                              // 000000008484: 0B0E8F87
	s_waitcnt vmcnt(20)                                        // 000000008488: BF8C4F74
	buffer_load_dwordx4 a[16:19], v40, s[12:15], 0 offen       // 00000000848C: E05C1000 80831028
	v_mul_f32_e64 v50, -v136, s6                               // 000000008494: D1050032 20000D88
	v_mul_f32_e64 v51, -v137, s6                               // 00000000849C: D1050033 20000D89
	v_mul_f32_e64 v52, -v138, s6                               // 0000000084A4: D1050034 20000D8A
	v_mul_f32_e64 v53, -v139, s6                               // 0000000084AC: D1050035 20000D8B
	v_exp_f32_e32 v50, v50                                     // 0000000084B4: 7E644132
	v_exp_f32_e32 v51, v51                                     // 0000000084B8: 7E664133
	v_exp_f32_e32 v52, v52                                     // 0000000084BC: 7E684134
	v_exp_f32_e32 v53, v53                                     // 0000000084C0: 7E6A4135
	buffer_load_dwordx4 a[20:23], v41, s[12:15], 0 offen       // 0000000084C4: E05C1000 80831429
	v_add_f32_e64 v50, v50, 1.0                                // 0000000084CC: D1010032 0001E532
	v_add_f32_e64 v51, v51, 1.0                                // 0000000084D4: D1010033 0001E533
	v_add_f32_e64 v52, v52, 1.0                                // 0000000084DC: D1010034 0001E534
	v_add_f32_e64 v53, v53, 1.0                                // 0000000084E4: D1010035 0001E535
	v_rcp_f32_e32 v50, v50                                     // 0000000084EC: 7E644532
	v_rcp_f32_e32 v51, v51                                     // 0000000084F0: 7E664533
	v_rcp_f32_e32 v52, v52                                     // 0000000084F4: 7E684534
	v_rcp_f32_e32 v53, v53                                     // 0000000084F8: 7E6A4535
	v_mul_f32_e32 v136, v136, v50                              // 0000000084FC: 0B106588
	v_mul_f32_e32 v137, v137, v51                              // 000000008500: 0B126789
	v_mul_f32_e32 v138, v138, v52                              // 000000008504: 0B14698A
	v_mul_f32_e32 v139, v139, v53                              // 000000008508: 0B166B8B
	v_mul_f32_e32 v136, v136, v72                              // 00000000850C: 0B109188
	v_mul_f32_e32 v137, v137, v73                              // 000000008510: 0B129389
	v_mul_f32_e32 v138, v138, v74                              // 000000008514: 0B14958A
	v_mul_f32_e32 v139, v139, v75                              // 000000008518: 0B16978B
	buffer_load_dwordx4 a[24:27], v42, s[12:15], 0 offen       // 00000000851C: E05C1000 8083182A
	v_mul_f32_e64 v50, -v140, s6                               // 000000008524: D1050032 20000D8C
	v_mul_f32_e64 v51, -v141, s6                               // 00000000852C: D1050033 20000D8D
	v_mul_f32_e64 v52, -v142, s6                               // 000000008534: D1050034 20000D8E
	v_mul_f32_e64 v53, -v143, s6                               // 00000000853C: D1050035 20000D8F
	v_exp_f32_e32 v50, v50                                     // 000000008544: 7E644132
	v_exp_f32_e32 v51, v51                                     // 000000008548: 7E664133
	v_exp_f32_e32 v52, v52                                     // 00000000854C: 7E684134
	v_exp_f32_e32 v53, v53                                     // 000000008550: 7E6A4135
	buffer_load_dwordx4 a[28:31], v43, s[12:15], 0 offen       // 000000008554: E05C1000 80831C2B
	s_add_u32 s12, s78, s12                                    // 00000000855C: 800C0C4E
	s_addc_u32 s13, 0, s13                                     // 000000008560: 820D0D80
	v_add_f32_e64 v50, v50, 1.0                                // 000000008564: D1010032 0001E532
	v_add_f32_e64 v51, v51, 1.0                                // 00000000856C: D1010033 0001E533
	v_add_f32_e64 v52, v52, 1.0                                // 000000008574: D1010034 0001E534
	v_add_f32_e64 v53, v53, 1.0                                // 00000000857C: D1010035 0001E535
	v_rcp_f32_e32 v50, v50                                     // 000000008584: 7E644532
	v_rcp_f32_e32 v51, v51                                     // 000000008588: 7E664533
	v_rcp_f32_e32 v52, v52                                     // 00000000858C: 7E684534
	v_rcp_f32_e32 v53, v53                                     // 000000008590: 7E6A4535
	v_mul_f32_e32 v140, v140, v50                              // 000000008594: 0B18658C
	v_mul_f32_e32 v141, v141, v51                              // 000000008598: 0B1A678D
	v_mul_f32_e32 v142, v142, v52                              // 00000000859C: 0B1C698E
	v_mul_f32_e32 v143, v143, v53                              // 0000000085A0: 0B1E6B8F
	v_mul_f32_e32 v140, v140, v76                              // 0000000085A4: 0B18998C
	v_mul_f32_e32 v141, v141, v77                              // 0000000085A8: 0B1A9B8D
	v_mul_f32_e32 v142, v142, v78                              // 0000000085AC: 0B1C9D8E
	v_mul_f32_e32 v143, v143, v79                              // 0000000085B0: 0B1E9F8F
	s_waitcnt vmcnt(20)                                        // 0000000085B4: BF8C4F74
	buffer_load_dwordx4 a[32:35], v40, s[12:15], 0 offen       // 0000000085B8: E05C1000 80832028
	v_mul_f32_e64 v50, -v144, s6                               // 0000000085C0: D1050032 20000D90
	v_mul_f32_e64 v51, -v145, s6                               // 0000000085C8: D1050033 20000D91
	v_mul_f32_e64 v52, -v146, s6                               // 0000000085D0: D1050034 20000D92
	v_mul_f32_e64 v53, -v147, s6                               // 0000000085D8: D1050035 20000D93
	v_exp_f32_e32 v50, v50                                     // 0000000085E0: 7E644132
	v_exp_f32_e32 v51, v51                                     // 0000000085E4: 7E664133
	v_exp_f32_e32 v52, v52                                     // 0000000085E8: 7E684134
	v_exp_f32_e32 v53, v53                                     // 0000000085EC: 7E6A4135
	buffer_load_dwordx4 a[36:39], v41, s[12:15], 0 offen       // 0000000085F0: E05C1000 80832429
	v_add_f32_e64 v50, v50, 1.0                                // 0000000085F8: D1010032 0001E532
	v_add_f32_e64 v51, v51, 1.0                                // 000000008600: D1010033 0001E533
	v_add_f32_e64 v52, v52, 1.0                                // 000000008608: D1010034 0001E534
	v_add_f32_e64 v53, v53, 1.0                                // 000000008610: D1010035 0001E535
	v_rcp_f32_e32 v50, v50                                     // 000000008618: 7E644532
	v_rcp_f32_e32 v51, v51                                     // 00000000861C: 7E664533
	v_rcp_f32_e32 v52, v52                                     // 000000008620: 7E684534
	v_rcp_f32_e32 v53, v53                                     // 000000008624: 7E6A4535
	v_mul_f32_e32 v144, v144, v50                              // 000000008628: 0B206590
	v_mul_f32_e32 v145, v145, v51                              // 00000000862C: 0B226791
	v_mul_f32_e32 v146, v146, v52                              // 000000008630: 0B246992
	v_mul_f32_e32 v147, v147, v53                              // 000000008634: 0B266B93
	v_mul_f32_e32 v144, v144, v80                              // 000000008638: 0B20A190
	v_mul_f32_e32 v145, v145, v81                              // 00000000863C: 0B22A391
	v_mul_f32_e32 v146, v146, v82                              // 000000008640: 0B24A592
	v_mul_f32_e32 v147, v147, v83                              // 000000008644: 0B26A793
	buffer_load_dwordx4 a[40:43], v42, s[12:15], 0 offen       // 000000008648: E05C1000 8083282A
	v_mul_f32_e64 v50, -v148, s6                               // 000000008650: D1050032 20000D94
	v_mul_f32_e64 v51, -v149, s6                               // 000000008658: D1050033 20000D95
	v_mul_f32_e64 v52, -v150, s6                               // 000000008660: D1050034 20000D96
	v_mul_f32_e64 v53, -v151, s6                               // 000000008668: D1050035 20000D97
	v_exp_f32_e32 v50, v50                                     // 000000008670: 7E644132
	v_exp_f32_e32 v51, v51                                     // 000000008674: 7E664133
	v_exp_f32_e32 v52, v52                                     // 000000008678: 7E684134
	v_exp_f32_e32 v53, v53                                     // 00000000867C: 7E6A4135
	buffer_load_dwordx4 a[44:47], v43, s[12:15], 0 offen       // 000000008680: E05C1000 80832C2B
	s_add_u32 s12, s78, s12                                    // 000000008688: 800C0C4E
	s_addc_u32 s13, 0, s13                                     // 00000000868C: 820D0D80
	v_add_f32_e64 v50, v50, 1.0                                // 000000008690: D1010032 0001E532
	v_add_f32_e64 v51, v51, 1.0                                // 000000008698: D1010033 0001E533
	v_add_f32_e64 v52, v52, 1.0                                // 0000000086A0: D1010034 0001E534
	v_add_f32_e64 v53, v53, 1.0                                // 0000000086A8: D1010035 0001E535
	v_rcp_f32_e32 v50, v50                                     // 0000000086B0: 7E644532
	v_rcp_f32_e32 v51, v51                                     // 0000000086B4: 7E664533
	v_rcp_f32_e32 v52, v52                                     // 0000000086B8: 7E684534
	v_rcp_f32_e32 v53, v53                                     // 0000000086BC: 7E6A4535
	v_mul_f32_e32 v148, v148, v50                              // 0000000086C0: 0B286594
	v_mul_f32_e32 v149, v149, v51                              // 0000000086C4: 0B2A6795
	v_mul_f32_e32 v150, v150, v52                              // 0000000086C8: 0B2C6996
	v_mul_f32_e32 v151, v151, v53                              // 0000000086CC: 0B2E6B97
	v_mul_f32_e32 v148, v148, v84                              // 0000000086D0: 0B28A994
	v_mul_f32_e32 v149, v149, v85                              // 0000000086D4: 0B2AAB95
	v_mul_f32_e32 v150, v150, v86                              // 0000000086D8: 0B2CAD96
	v_mul_f32_e32 v151, v151, v87                              // 0000000086DC: 0B2EAF97
	s_waitcnt vmcnt(20)                                        // 0000000086E0: BF8C4F74
	buffer_load_dwordx4 a[48:51], v40, s[12:15], 0 offen       // 0000000086E4: E05C1000 80833028
	v_mul_f32_e64 v50, -v152, s6                               // 0000000086EC: D1050032 20000D98
	v_mul_f32_e64 v51, -v153, s6                               // 0000000086F4: D1050033 20000D99
	v_mul_f32_e64 v52, -v154, s6                               // 0000000086FC: D1050034 20000D9A
	v_mul_f32_e64 v53, -v155, s6                               // 000000008704: D1050035 20000D9B
	v_exp_f32_e32 v50, v50                                     // 00000000870C: 7E644132
	v_exp_f32_e32 v51, v51                                     // 000000008710: 7E664133
	v_exp_f32_e32 v52, v52                                     // 000000008714: 7E684134
	v_exp_f32_e32 v53, v53                                     // 000000008718: 7E6A4135
	buffer_load_dwordx4 a[52:55], v41, s[12:15], 0 offen       // 00000000871C: E05C1000 80833429
	v_add_f32_e64 v50, v50, 1.0                                // 000000008724: D1010032 0001E532
	v_add_f32_e64 v51, v51, 1.0                                // 00000000872C: D1010033 0001E533
	v_add_f32_e64 v52, v52, 1.0                                // 000000008734: D1010034 0001E534
	v_add_f32_e64 v53, v53, 1.0                                // 00000000873C: D1010035 0001E535
	v_rcp_f32_e32 v50, v50                                     // 000000008744: 7E644532
	v_rcp_f32_e32 v51, v51                                     // 000000008748: 7E664533
	v_rcp_f32_e32 v52, v52                                     // 00000000874C: 7E684534
	v_rcp_f32_e32 v53, v53                                     // 000000008750: 7E6A4535
	v_mul_f32_e32 v152, v152, v50                              // 000000008754: 0B306598
	v_mul_f32_e32 v153, v153, v51                              // 000000008758: 0B326799
	v_mul_f32_e32 v154, v154, v52                              // 00000000875C: 0B34699A
	v_mul_f32_e32 v155, v155, v53                              // 000000008760: 0B366B9B
	v_mul_f32_e32 v152, v152, v88                              // 000000008764: 0B30B198
	v_mul_f32_e32 v153, v153, v89                              // 000000008768: 0B32B399
	v_mul_f32_e32 v154, v154, v90                              // 00000000876C: 0B34B59A
	v_mul_f32_e32 v155, v155, v91                              // 000000008770: 0B36B79B
	buffer_load_dwordx4 a[56:59], v42, s[12:15], 0 offen       // 000000008774: E05C1000 8083382A
	v_mul_f32_e64 v50, -v156, s6                               // 00000000877C: D1050032 20000D9C
	v_mul_f32_e64 v51, -v157, s6                               // 000000008784: D1050033 20000D9D
	v_mul_f32_e64 v52, -v158, s6                               // 00000000878C: D1050034 20000D9E
	v_mul_f32_e64 v53, -v159, s6                               // 000000008794: D1050035 20000D9F
	v_exp_f32_e32 v50, v50                                     // 00000000879C: 7E644132
	v_exp_f32_e32 v51, v51                                     // 0000000087A0: 7E664133
	v_exp_f32_e32 v52, v52                                     // 0000000087A4: 7E684134
	v_exp_f32_e32 v53, v53                                     // 0000000087A8: 7E6A4135
	buffer_load_dwordx4 a[60:63], v43, s[12:15], 0 offen       // 0000000087AC: E05C1000 80833C2B
	s_add_u32 s12, s78, s12                                    // 0000000087B4: 800C0C4E
	s_addc_u32 s13, 0, s13                                     // 0000000087B8: 820D0D80
	v_add_f32_e64 v50, v50, 1.0                                // 0000000087BC: D1010032 0001E532
	v_add_f32_e64 v51, v51, 1.0                                // 0000000087C4: D1010033 0001E533
	v_add_f32_e64 v52, v52, 1.0                                // 0000000087CC: D1010034 0001E534
	v_add_f32_e64 v53, v53, 1.0                                // 0000000087D4: D1010035 0001E535
	v_rcp_f32_e32 v50, v50                                     // 0000000087DC: 7E644532
	v_rcp_f32_e32 v51, v51                                     // 0000000087E0: 7E664533
	v_rcp_f32_e32 v52, v52                                     // 0000000087E4: 7E684534
	v_rcp_f32_e32 v53, v53                                     // 0000000087E8: 7E6A4535
	v_mul_f32_e32 v156, v156, v50                              // 0000000087EC: 0B38659C
	v_mul_f32_e32 v157, v157, v51                              // 0000000087F0: 0B3A679D
	v_mul_f32_e32 v158, v158, v52                              // 0000000087F4: 0B3C699E
	v_mul_f32_e32 v159, v159, v53                              // 0000000087F8: 0B3E6B9F
	v_mul_f32_e32 v156, v156, v92                              // 0000000087FC: 0B38B99C
	v_mul_f32_e32 v157, v157, v93                              // 000000008800: 0B3ABB9D
	v_mul_f32_e32 v158, v158, v94                              // 000000008804: 0B3CBD9E
	v_mul_f32_e32 v159, v159, v95                              // 000000008808: 0B3EBF9F
	s_waitcnt vmcnt(20)                                        // 00000000880C: BF8C4F74
	buffer_load_dwordx4 a[64:67], v40, s[12:15], 0 offen       // 000000008810: E05C1000 80834028
	v_mul_f32_e64 v50, -v160, s6                               // 000000008818: D1050032 20000DA0
	v_mul_f32_e64 v51, -v161, s6                               // 000000008820: D1050033 20000DA1
	v_mul_f32_e64 v52, -v162, s6                               // 000000008828: D1050034 20000DA2
	v_mul_f32_e64 v53, -v163, s6                               // 000000008830: D1050035 20000DA3
	v_exp_f32_e32 v50, v50                                     // 000000008838: 7E644132
	v_exp_f32_e32 v51, v51                                     // 00000000883C: 7E664133
	v_exp_f32_e32 v52, v52                                     // 000000008840: 7E684134
	v_exp_f32_e32 v53, v53                                     // 000000008844: 7E6A4135
	buffer_load_dwordx4 a[68:71], v41, s[12:15], 0 offen       // 000000008848: E05C1000 80834429
	v_add_f32_e64 v50, v50, 1.0                                // 000000008850: D1010032 0001E532
	v_add_f32_e64 v51, v51, 1.0                                // 000000008858: D1010033 0001E533
	v_add_f32_e64 v52, v52, 1.0                                // 000000008860: D1010034 0001E534
	v_add_f32_e64 v53, v53, 1.0                                // 000000008868: D1010035 0001E535
	v_rcp_f32_e32 v50, v50                                     // 000000008870: 7E644532
	v_rcp_f32_e32 v51, v51                                     // 000000008874: 7E664533
	v_rcp_f32_e32 v52, v52                                     // 000000008878: 7E684534
	v_rcp_f32_e32 v53, v53                                     // 00000000887C: 7E6A4535
	v_mul_f32_e32 v160, v160, v50                              // 000000008880: 0B4065A0
	v_mul_f32_e32 v161, v161, v51                              // 000000008884: 0B4267A1
	v_mul_f32_e32 v162, v162, v52                              // 000000008888: 0B4469A2
	v_mul_f32_e32 v163, v163, v53                              // 00000000888C: 0B466BA3
	v_mul_f32_e32 v160, v160, v96                              // 000000008890: 0B40C1A0
	v_mul_f32_e32 v161, v161, v97                              // 000000008894: 0B42C3A1
	v_mul_f32_e32 v162, v162, v98                              // 000000008898: 0B44C5A2
	v_mul_f32_e32 v163, v163, v99                              // 00000000889C: 0B46C7A3
	buffer_load_dwordx4 a[72:75], v42, s[12:15], 0 offen       // 0000000088A0: E05C1000 8083482A
	v_mul_f32_e64 v50, -v164, s6                               // 0000000088A8: D1050032 20000DA4
	v_mul_f32_e64 v51, -v165, s6                               // 0000000088B0: D1050033 20000DA5
	v_mul_f32_e64 v52, -v166, s6                               // 0000000088B8: D1050034 20000DA6
	v_mul_f32_e64 v53, -v167, s6                               // 0000000088C0: D1050035 20000DA7
	v_exp_f32_e32 v50, v50                                     // 0000000088C8: 7E644132
	v_exp_f32_e32 v51, v51                                     // 0000000088CC: 7E664133
	v_exp_f32_e32 v52, v52                                     // 0000000088D0: 7E684134
	v_exp_f32_e32 v53, v53                                     // 0000000088D4: 7E6A4135
	buffer_load_dwordx4 a[76:79], v43, s[12:15], 0 offen       // 0000000088D8: E05C1000 80834C2B
	s_add_u32 s12, s78, s12                                    // 0000000088E0: 800C0C4E
	s_addc_u32 s13, 0, s13                                     // 0000000088E4: 820D0D80
	v_add_f32_e64 v50, v50, 1.0                                // 0000000088E8: D1010032 0001E532
	v_add_f32_e64 v51, v51, 1.0                                // 0000000088F0: D1010033 0001E533
	v_add_f32_e64 v52, v52, 1.0                                // 0000000088F8: D1010034 0001E534
	v_add_f32_e64 v53, v53, 1.0                                // 000000008900: D1010035 0001E535
	v_rcp_f32_e32 v50, v50                                     // 000000008908: 7E644532
	v_rcp_f32_e32 v51, v51                                     // 00000000890C: 7E664533
	v_rcp_f32_e32 v52, v52                                     // 000000008910: 7E684534
	v_rcp_f32_e32 v53, v53                                     // 000000008914: 7E6A4535
	v_mul_f32_e32 v164, v164, v50                              // 000000008918: 0B4865A4
	v_mul_f32_e32 v165, v165, v51                              // 00000000891C: 0B4A67A5
	v_mul_f32_e32 v166, v166, v52                              // 000000008920: 0B4C69A6
	v_mul_f32_e32 v167, v167, v53                              // 000000008924: 0B4E6BA7
	v_mul_f32_e32 v164, v164, v100                             // 000000008928: 0B48C9A4
	v_mul_f32_e32 v165, v165, v101                             // 00000000892C: 0B4ACBA5
	v_mul_f32_e32 v166, v166, v102                             // 000000008930: 0B4CCDA6
	v_mul_f32_e32 v167, v167, v103                             // 000000008934: 0B4ECFA7
	s_waitcnt vmcnt(20)                                        // 000000008938: BF8C4F74
	buffer_load_dwordx4 a[80:83], v40, s[12:15], 0 offen       // 00000000893C: E05C1000 80835028
	v_mul_f32_e64 v50, -v168, s6                               // 000000008944: D1050032 20000DA8
	v_mul_f32_e64 v51, -v169, s6                               // 00000000894C: D1050033 20000DA9
	v_mul_f32_e64 v52, -v170, s6                               // 000000008954: D1050034 20000DAA
	v_mul_f32_e64 v53, -v171, s6                               // 00000000895C: D1050035 20000DAB
	v_exp_f32_e32 v50, v50                                     // 000000008964: 7E644132
	v_exp_f32_e32 v51, v51                                     // 000000008968: 7E664133
	v_exp_f32_e32 v52, v52                                     // 00000000896C: 7E684134
	v_exp_f32_e32 v53, v53                                     // 000000008970: 7E6A4135
	buffer_load_dwordx4 a[84:87], v41, s[12:15], 0 offen       // 000000008974: E05C1000 80835429
	v_add_f32_e64 v50, v50, 1.0                                // 00000000897C: D1010032 0001E532
	v_add_f32_e64 v51, v51, 1.0                                // 000000008984: D1010033 0001E533
	v_add_f32_e64 v52, v52, 1.0                                // 00000000898C: D1010034 0001E534
	v_add_f32_e64 v53, v53, 1.0                                // 000000008994: D1010035 0001E535
	v_rcp_f32_e32 v50, v50                                     // 00000000899C: 7E644532
	v_rcp_f32_e32 v51, v51                                     // 0000000089A0: 7E664533
	v_rcp_f32_e32 v52, v52                                     // 0000000089A4: 7E684534
	v_rcp_f32_e32 v53, v53                                     // 0000000089A8: 7E6A4535
	v_mul_f32_e32 v168, v168, v50                              // 0000000089AC: 0B5065A8
	v_mul_f32_e32 v169, v169, v51                              // 0000000089B0: 0B5267A9
	v_mul_f32_e32 v170, v170, v52                              // 0000000089B4: 0B5469AA
	v_mul_f32_e32 v171, v171, v53                              // 0000000089B8: 0B566BAB
	v_mul_f32_e32 v168, v168, v104                             // 0000000089BC: 0B50D1A8
	v_mul_f32_e32 v169, v169, v105                             // 0000000089C0: 0B52D3A9
	v_mul_f32_e32 v170, v170, v106                             // 0000000089C4: 0B54D5AA
	v_mul_f32_e32 v171, v171, v107                             // 0000000089C8: 0B56D7AB
	buffer_load_dwordx4 a[88:91], v42, s[12:15], 0 offen       // 0000000089CC: E05C1000 8083582A
	v_mul_f32_e64 v50, -v172, s6                               // 0000000089D4: D1050032 20000DAC
	v_mul_f32_e64 v51, -v173, s6                               // 0000000089DC: D1050033 20000DAD
	v_mul_f32_e64 v52, -v174, s6                               // 0000000089E4: D1050034 20000DAE
	v_mul_f32_e64 v53, -v175, s6                               // 0000000089EC: D1050035 20000DAF
	v_exp_f32_e32 v50, v50                                     // 0000000089F4: 7E644132
	v_exp_f32_e32 v51, v51                                     // 0000000089F8: 7E664133
	v_exp_f32_e32 v52, v52                                     // 0000000089FC: 7E684134
	v_exp_f32_e32 v53, v53                                     // 000000008A00: 7E6A4135
	buffer_load_dwordx4 a[92:95], v43, s[12:15], 0 offen       // 000000008A04: E05C1000 80835C2B
	v_add_f32_e64 v50, v50, 1.0                                // 000000008A0C: D1010032 0001E532
	v_add_f32_e64 v51, v51, 1.0                                // 000000008A14: D1010033 0001E533
	v_add_f32_e64 v52, v52, 1.0                                // 000000008A1C: D1010034 0001E534
	v_add_f32_e64 v53, v53, 1.0                                // 000000008A24: D1010035 0001E535
	v_rcp_f32_e32 v50, v50                                     // 000000008A2C: 7E644532
	v_rcp_f32_e32 v51, v51                                     // 000000008A30: 7E664533
	v_rcp_f32_e32 v52, v52                                     // 000000008A34: 7E684534
	v_rcp_f32_e32 v53, v53                                     // 000000008A38: 7E6A4535
	v_mul_f32_e32 v172, v172, v50                              // 000000008A3C: 0B5865AC
	v_mul_f32_e32 v173, v173, v51                              // 000000008A40: 0B5A67AD
	v_mul_f32_e32 v174, v174, v52                              // 000000008A44: 0B5C69AE
	v_mul_f32_e32 v175, v175, v53                              // 000000008A48: 0B5E6BAF
	v_mul_f32_e32 v172, v172, v108                             // 000000008A4C: 0B58D9AC
	v_mul_f32_e32 v173, v173, v109                             // 000000008A50: 0B5ADBAD
	v_mul_f32_e32 v174, v174, v110                             // 000000008A54: 0B5CDDAE
	v_mul_f32_e32 v175, v175, v111                             // 000000008A58: 0B5EDFAF
	v_lshlrev_b32_e32 v50, 2, v0                               // 000000008A5C: 24640082
	s_mul_i32 s60, s82, s71                                    // 000000008A60: 923C4752
	v_add_u32_e64 v80, v50, s60                                // 000000008A64: D1340050 00007932
	v_mov_b32_e32 v81, 0                                       // 000000008A6C: 7EA20280
	s_mul_i32 s60, s83, s71                                    // 000000008A70: 923C4753
	v_add_u32_e64 v82, v50, s60                                // 000000008A74: D1340052 00007932
	v_mov_b32_e32 v83, 0                                       // 000000008A7C: 7EA60280
	s_mul_i32 s60, s84, s71                                    // 000000008A80: 923C4754
	v_add_u32_e64 v84, v50, s60                                // 000000008A84: D1340054 00007932
	v_mov_b32_e32 v85, 0                                       // 000000008A8C: 7EAA0280
	s_mul_i32 s60, s85, s71                                    // 000000008A90: 923C4755
	v_add_u32_e64 v86, v50, s60                                // 000000008A94: D1340056 00007932
	v_mov_b32_e32 v87, 0                                       // 000000008A9C: 7EAE0280
	s_mul_i32 s60, s86, s71                                    // 000000008AA0: 923C4756
	v_add_u32_e64 v88, v50, s60                                // 000000008AA4: D1340058 00007932
	v_mov_b32_e32 v89, 0                                       // 000000008AAC: 7EB20280
	s_mul_i32 s60, s87, s71                                    // 000000008AB0: 923C4757
	v_add_u32_e64 v90, v50, s60                                // 000000008AB4: D134005A 00007932
	v_mov_b32_e32 v91, 0                                       // 000000008ABC: 7EB60280
	s_mul_i32 s60, s88, s71                                    // 000000008AC0: 923C4758
	v_add_u32_e64 v92, v50, s60                                // 000000008AC4: D134005C 00007932
	v_mov_b32_e32 v93, 0                                       // 000000008ACC: 7EBA0280
	s_mul_i32 s60, s89, s71                                    // 000000008AD0: 923C4759
	v_add_u32_e64 v94, v50, s60                                // 000000008AD4: D134005E 00007932
	v_mov_b32_e32 v95, 0                                       // 000000008ADC: 7EBE0280
	buffer_load_dword v12, v5, s[16:19], 0 offen               // 000000008AE0: E0501000 80040C05
	v_mov_b32_e32 v22, 0x358637bd                              // 000000008AE8: 7E2C02FF 358637BD
	v_mov_b32_e32 v23, 0x358637bd                              // 000000008AF0: 7E2E02FF 358637BD
	v_max3_f32 v22, |v128|, |v129|, v22                        // 000000008AF8: D1D30316 045B0380
	v_max3_f32 v22, |v130|, |v131|, v22                        // 000000008B00: D1D30316 045B0782
	v_max3_f32 v23, |v132|, |v133|, v23                        // 000000008B08: D1D30317 045F0B84
	v_max3_f32 v23, |v134|, |v135|, v23                        // 000000008B10: D1D30317 045F0F86
	v_max3_f32 v22, |v136|, |v137|, v22                        // 000000008B18: D1D30316 045B1388
	v_max3_f32 v22, |v138|, |v139|, v22                        // 000000008B20: D1D30316 045B178A
	v_max3_f32 v23, |v140|, |v141|, v23                        // 000000008B28: D1D30317 045F1B8C
	v_max3_f32 v23, |v142|, |v143|, v23                        // 000000008B30: D1D30317 045F1F8E
	v_max3_f32 v22, |v144|, |v145|, v22                        // 000000008B38: D1D30316 045B2390
	v_max3_f32 v22, |v146|, |v147|, v22                        // 000000008B40: D1D30316 045B2792
	v_max3_f32 v23, |v148|, |v149|, v23                        // 000000008B48: D1D30317 045F2B94
	v_max3_f32 v23, |v150|, |v151|, v23                        // 000000008B50: D1D30317 045F2F96
	v_max3_f32 v22, |v152|, |v153|, v22                        // 000000008B58: D1D30316 045B3398
	v_max3_f32 v22, |v154|, |v155|, v22                        // 000000008B60: D1D30316 045B379A
	v_max3_f32 v23, |v156|, |v157|, v23                        // 000000008B68: D1D30317 045F3B9C
	v_max3_f32 v23, |v158|, |v159|, v23                        // 000000008B70: D1D30317 045F3F9E
	v_max3_f32 v22, |v160|, |v161|, v22                        // 000000008B78: D1D30316 045B43A0
	v_max3_f32 v22, |v162|, |v163|, v22                        // 000000008B80: D1D30316 045B47A2
	v_max3_f32 v23, |v164|, |v165|, v23                        // 000000008B88: D1D30317 045F4BA4
	v_max3_f32 v23, |v166|, |v167|, v23                        // 000000008B90: D1D30317 045F4FA6
	v_max3_f32 v22, |v168|, |v169|, v22                        // 000000008B98: D1D30316 045B53A8
	v_max3_f32 v22, |v170|, |v171|, v22                        // 000000008BA0: D1D30316 045B57AA
	v_max3_f32 v23, |v172|, |v173|, v23                        // 000000008BA8: D1D30317 045F5BAC
	v_max3_f32 v23, |v174|, |v175|, v23                        // 000000008BB0: D1D30317 045F5FAE
	v_lshlrev_b32_e32 v50, 3, v0                               // 000000008BB8: 24640083
	s_mul_i32 s60, 0x200, s7                                   // 000000008BBC: 923C07FF 00000200
	v_add_u32_e32 v50, s60, v50                                // 000000008BC4: 6864643C
	ds_write_b64 v50, v[22:23] offset:16640                    // 000000008BC8: D89A4100 00001632
	s_waitcnt lgkmcnt(0)                                       // 000000008BD0: BF8CC07F
	s_barrier                                                  // 000000008BD4: BF8A0000
	v_and_b32_e32 v50, 15, v0                                  // 000000008BD8: 2664008F
	v_lshlrev_b32_e32 v50, 3, v50                              // 000000008BDC: 24646483
	ds_read_b64 v[96:97], v50 offset:16640                     // 000000008BE0: D8EC4100 60000032
	ds_read_b64 v[98:99], v50 offset:16768                     // 000000008BE8: D8EC4180 62000032
	ds_read_b64 v[100:101], v50 offset:16896                   // 000000008BF0: D8EC4200 64000032
	ds_read_b64 v[102:103], v50 offset:17024                   // 000000008BF8: D8EC4280 66000032
	ds_read_b64 v[104:105], v50 offset:17152                   // 000000008C00: D8EC4300 68000032
	ds_read_b64 v[106:107], v50 offset:17280                   // 000000008C08: D8EC4380 6A000032
	ds_read_b64 v[108:109], v50 offset:17408                   // 000000008C10: D8EC4400 6C000032
	ds_read_b64 v[110:111], v50 offset:17536                   // 000000008C18: D8EC4480 6E000032
	ds_read_b64 v[112:113], v50 offset:17664                   // 000000008C20: D8EC4500 70000032
	ds_read_b64 v[114:115], v50 offset:17792                   // 000000008C28: D8EC4580 72000032
	ds_read_b64 v[116:117], v50 offset:17920                   // 000000008C30: D8EC4600 74000032
	ds_read_b64 v[118:119], v50 offset:18048                   // 000000008C38: D8EC4680 76000032
	ds_read_b64 v[120:121], v50 offset:18176                   // 000000008C40: D8EC4700 78000032
	ds_read_b64 v[122:123], v50 offset:18304                   // 000000008C48: D8EC4780 7A000032
	ds_read_b64 v[124:125], v50 offset:18432                   // 000000008C50: D8EC4800 7C000032
	ds_read_b64 v[126:127], v50 offset:18560                   // 000000008C58: D8EC4880 7E000032
	s_waitcnt lgkmcnt(0)                                       // 000000008C60: BF8CC07F
	v_max3_f32 v22, |v96|, |v98|, v22                          // 000000008C64: D1D30316 045AC560
	v_max3_f32 v23, |v97|, |v99|, v23                          // 000000008C6C: D1D30317 045EC761
	v_max3_f32 v22, |v100|, |v102|, v22                        // 000000008C74: D1D30316 045ACD64
	v_max3_f32 v23, |v101|, |v103|, v23                        // 000000008C7C: D1D30317 045ECF65
	v_max3_f32 v22, |v104|, |v106|, v22                        // 000000008C84: D1D30316 045AD568
	v_max3_f32 v23, |v105|, |v107|, v23                        // 000000008C8C: D1D30317 045ED769
	v_max3_f32 v22, |v108|, |v110|, v22                        // 000000008C94: D1D30316 045ADD6C
	v_max3_f32 v23, |v109|, |v111|, v23                        // 000000008C9C: D1D30317 045EDF6D
	v_max3_f32 v22, |v112|, |v114|, v22                        // 000000008CA4: D1D30316 045AE570
	v_max3_f32 v23, |v113|, |v115|, v23                        // 000000008CAC: D1D30317 045EE771
	v_max3_f32 v22, |v116|, |v118|, v22                        // 000000008CB4: D1D30316 045AED74
	v_max3_f32 v23, |v117|, |v119|, v23                        // 000000008CBC: D1D30317 045EEF75
	v_max3_f32 v22, |v120|, |v122|, v22                        // 000000008CC4: D1D30316 045AF578
	v_max3_f32 v23, |v121|, |v123|, v23                        // 000000008CCC: D1D30317 045EF779
	v_max3_f32 v22, |v124|, |v126|, v22                        // 000000008CD4: D1D30316 045AFD7C
	v_max3_f32 v23, |v125|, |v127|, v23                        // 000000008CDC: D1D30317 045EFF7D
	v_rcp_f32_e32 v22, v22                                     // 000000008CE4: 7E2C4516
	v_rcp_f32_e32 v23, v23                                     // 000000008CE8: 7E2E4517
	v_mov_b32_e32 v50, 0x43e00000                              // 000000008CEC: 7E6402FF 43E00000
	v_mul_f32_e32 v22, v50, v22                                // 000000008CF4: 0A2C2D32
	v_mul_f32_e32 v23, v50, v23                                // 000000008CF8: 0A2E2F32
	v_mul_f32_e32 v128, v22, v128                              // 000000008CFC: 0B010116
	v_mul_f32_e32 v129, v22, v129                              // 000000008D00: 0B030316
	v_mul_f32_e32 v130, v22, v130                              // 000000008D04: 0B050516
	v_mul_f32_e32 v131, v22, v131                              // 000000008D08: 0B070716
	v_cvt_pk_fp8_f32 v128, v128, v129                          // 000000008D0C: D2A20080 00030380
	v_cvt_pk_fp8_f32 v128, v130, v131 op_sel:[0,0,1]           // 000000008D14: D2A24080 00030782
	v_mul_f32_e32 v132, v23, v132                              // 000000008D1C: 0B090917
	v_mul_f32_e32 v133, v23, v133                              // 000000008D20: 0B0B0B17
	v_mul_f32_e32 v134, v23, v134                              // 000000008D24: 0B0D0D17
	v_mul_f32_e32 v135, v23, v135                              // 000000008D28: 0B0F0F17
	v_cvt_pk_fp8_f32 v129, v132, v133                          // 000000008D2C: D2A20081 00030B84
	v_cvt_pk_fp8_f32 v129, v134, v135 op_sel:[0,0,1]           // 000000008D34: D2A24081 00030F86
	v_mul_f32_e32 v136, v22, v136                              // 000000008D3C: 0B111116
	v_mul_f32_e32 v137, v22, v137                              // 000000008D40: 0B131316
	v_mul_f32_e32 v138, v22, v138                              // 000000008D44: 0B151516
	v_mul_f32_e32 v139, v22, v139                              // 000000008D48: 0B171716
	v_cvt_pk_fp8_f32 v130, v136, v137                          // 000000008D4C: D2A20082 00031388
	v_cvt_pk_fp8_f32 v130, v138, v139 op_sel:[0,0,1]           // 000000008D54: D2A24082 0003178A
	v_mul_f32_e32 v140, v23, v140                              // 000000008D5C: 0B191917
	v_mul_f32_e32 v141, v23, v141                              // 000000008D60: 0B1B1B17
	v_mul_f32_e32 v142, v23, v142                              // 000000008D64: 0B1D1D17
	v_mul_f32_e32 v143, v23, v143                              // 000000008D68: 0B1F1F17
	v_cvt_pk_fp8_f32 v131, v140, v141                          // 000000008D6C: D2A20083 00031B8C
	v_cvt_pk_fp8_f32 v131, v142, v143 op_sel:[0,0,1]           // 000000008D74: D2A24083 00031F8E
	v_mul_f32_e32 v144, v22, v144                              // 000000008D7C: 0B212116
	v_mul_f32_e32 v145, v22, v145                              // 000000008D80: 0B232316
	v_mul_f32_e32 v146, v22, v146                              // 000000008D84: 0B252516
	v_mul_f32_e32 v147, v22, v147                              // 000000008D88: 0B272716
	v_cvt_pk_fp8_f32 v132, v144, v145                          // 000000008D8C: D2A20084 00032390
	v_cvt_pk_fp8_f32 v132, v146, v147 op_sel:[0,0,1]           // 000000008D94: D2A24084 00032792
	v_mul_f32_e32 v148, v23, v148                              // 000000008D9C: 0B292917
	v_mul_f32_e32 v149, v23, v149                              // 000000008DA0: 0B2B2B17
	v_mul_f32_e32 v150, v23, v150                              // 000000008DA4: 0B2D2D17
	v_mul_f32_e32 v151, v23, v151                              // 000000008DA8: 0B2F2F17
	v_cvt_pk_fp8_f32 v133, v148, v149                          // 000000008DAC: D2A20085 00032B94
	v_cvt_pk_fp8_f32 v133, v150, v151 op_sel:[0,0,1]           // 000000008DB4: D2A24085 00032F96
	v_mul_f32_e32 v152, v22, v152                              // 000000008DBC: 0B313116
	v_mul_f32_e32 v153, v22, v153                              // 000000008DC0: 0B333316
	v_mul_f32_e32 v154, v22, v154                              // 000000008DC4: 0B353516
	v_mul_f32_e32 v155, v22, v155                              // 000000008DC8: 0B373716
	v_cvt_pk_fp8_f32 v134, v152, v153                          // 000000008DCC: D2A20086 00033398
	v_cvt_pk_fp8_f32 v134, v154, v155 op_sel:[0,0,1]           // 000000008DD4: D2A24086 0003379A
	v_mul_f32_e32 v156, v23, v156                              // 000000008DDC: 0B393917
	v_mul_f32_e32 v157, v23, v157                              // 000000008DE0: 0B3B3B17
	v_mul_f32_e32 v158, v23, v158                              // 000000008DE4: 0B3D3D17
	v_mul_f32_e32 v159, v23, v159                              // 000000008DE8: 0B3F3F17
	v_cvt_pk_fp8_f32 v135, v156, v157                          // 000000008DEC: D2A20087 00033B9C
	v_cvt_pk_fp8_f32 v135, v158, v159 op_sel:[0,0,1]           // 000000008DF4: D2A24087 00033F9E
	v_mul_f32_e32 v160, v22, v160                              // 000000008DFC: 0B414116
	v_mul_f32_e32 v161, v22, v161                              // 000000008E00: 0B434316
	v_mul_f32_e32 v162, v22, v162                              // 000000008E04: 0B454516
	v_mul_f32_e32 v163, v22, v163                              // 000000008E08: 0B474716
	v_cvt_pk_fp8_f32 v136, v160, v161                          // 000000008E0C: D2A20088 000343A0
	v_cvt_pk_fp8_f32 v136, v162, v163 op_sel:[0,0,1]           // 000000008E14: D2A24088 000347A2
	v_mul_f32_e32 v164, v23, v164                              // 000000008E1C: 0B494917
	v_mul_f32_e32 v165, v23, v165                              // 000000008E20: 0B4B4B17
	v_mul_f32_e32 v166, v23, v166                              // 000000008E24: 0B4D4D17
	v_mul_f32_e32 v167, v23, v167                              // 000000008E28: 0B4F4F17
	v_cvt_pk_fp8_f32 v137, v164, v165                          // 000000008E2C: D2A20089 00034BA4
	v_cvt_pk_fp8_f32 v137, v166, v167 op_sel:[0,0,1]           // 000000008E34: D2A24089 00034FA6
	v_mul_f32_e32 v168, v22, v168                              // 000000008E3C: 0B515116
	v_mul_f32_e32 v169, v22, v169                              // 000000008E40: 0B535316
	v_mul_f32_e32 v170, v22, v170                              // 000000008E44: 0B555516
	v_mul_f32_e32 v171, v22, v171                              // 000000008E48: 0B575716
	v_cvt_pk_fp8_f32 v138, v168, v169                          // 000000008E4C: D2A2008A 000353A8
	v_cvt_pk_fp8_f32 v138, v170, v171 op_sel:[0,0,1]           // 000000008E54: D2A2408A 000357AA
	v_mul_f32_e32 v172, v23, v172                              // 000000008E5C: 0B595917
	v_mul_f32_e32 v173, v23, v173                              // 000000008E60: 0B5B5B17
	v_mul_f32_e32 v174, v23, v174                              // 000000008E64: 0B5D5D17
	v_mul_f32_e32 v175, v23, v175                              // 000000008E68: 0B5F5F17
	v_cvt_pk_fp8_f32 v139, v172, v173                          // 000000008E6C: D2A2008B 00035BAC
	v_cvt_pk_fp8_f32 v139, v174, v175 op_sel:[0,0,1]           // 000000008E74: D2A2408B 00035FAE
	v_rcp_f32_e32 v24, v22                                     // 000000008E7C: 7E304516
	v_rcp_f32_e32 v25, v23                                     // 000000008E80: 7E324517
	v_lshrrev_b32_e32 v50, 5, v0                               // 000000008E84: 20640085
	v_lshlrev_b32_e32 v51, 5, v50                              // 000000008E88: 24666485
	v_and_b32_e32 v50, 31, v0                                  // 000000008E8C: 2664009F
	v_lshrrev_b32_e32 v52, 4, v50                              // 000000008E90: 20686484
	v_add_u32_e32 v51, v52, v51                                // 000000008E94: 68666734
	v_and_b32_e32 v50, 15, v0                                  // 000000008E98: 2664008F
	v_lshlrev_b32_e32 v50, 1, v50                              // 000000008E9C: 24646481
	v_add_u32_e32 v51, v50, v51                                // 000000008EA0: 68666732
	v_lshlrev_b32_e32 v50, 2, v51                              // 000000008EA4: 24646682
	s_mul_i32 s60, 0x100, s7                                   // 000000008EA8: 923C07FF 00000100
	v_add_u32_e64 v50, v50, s60                                // 000000008EB0: D1340032 00007932
	ds_write_b32 v50, v128 offset:18688                        // 000000008EB8: D81A4900 00008032
	ds_write_b32 v50, v129 offset:24832                        // 000000008EC0: D81A6100 00008132
	ds_write_b32 v50, v130 offset:19712                        // 000000008EC8: D81A4D00 00008232
	ds_write_b32 v50, v131 offset:25856                        // 000000008ED0: D81A6500 00008332
	ds_write_b32 v50, v132 offset:20736                        // 000000008ED8: D81A5100 00008432
	ds_write_b32 v50, v133 offset:26880                        // 000000008EE0: D81A6900 00008532
	ds_write_b32 v50, v134 offset:21760                        // 000000008EE8: D81A5500 00008632
	ds_write_b32 v50, v135 offset:27904                        // 000000008EF0: D81A6D00 00008732
	ds_write_b32 v50, v136 offset:22784                        // 000000008EF8: D81A5900 00008832
	ds_write_b32 v50, v137 offset:28928                        // 000000008F00: D81A7100 00008932
	ds_write_b32 v50, v138 offset:23808                        // 000000008F08: D81A5D00 00008A32
	ds_write_b32 v50, v139 offset:29952                        // 000000008F10: D81A7500 00008B32
	s_waitcnt lgkmcnt(0)                                       // 000000008F18: BF8CC07F
	s_barrier                                                  // 000000008F1C: BF8A0000
	v_lshrrev_b32_e32 v50, 4, v0                               // 000000008F20: 20640084
	v_lshlrev_b32_e32 v51, 6, v50                              // 000000008F24: 24666486
	v_and_b32_e32 v50, 15, v0                                  // 000000008F28: 2664008F
	v_lshlrev_b32_e32 v50, 1, v50                              // 000000008F2C: 24646481
	v_add_u32_e32 v51, v50, v51                                // 000000008F30: 68666732
	v_lshlrev_b32_e32 v50, 2, v51                              // 000000008F34: 24646682
	ds_read_b64 v[128:129], v50 offset:18688                   // 000000008F38: D8EC4900 80000032
	ds_read_b64 v[130:131], v50 offset:18816                   // 000000008F40: D8EC4980 82000032
	ds_read_b64 v[132:133], v50 offset:19712                   // 000000008F48: D8EC4D00 84000032
	ds_read_b64 v[134:135], v50 offset:19840                   // 000000008F50: D8EC4D80 86000032
	ds_read_b64 v[136:137], v50 offset:20736                   // 000000008F58: D8EC5100 88000032
	ds_read_b64 v[138:139], v50 offset:20864                   // 000000008F60: D8EC5180 8A000032
	ds_read_b64 v[140:141], v50 offset:21760                   // 000000008F68: D8EC5500 8C000032
	ds_read_b64 v[142:143], v50 offset:21888                   // 000000008F70: D8EC5580 8E000032
	ds_read_b64 v[144:145], v50 offset:22784                   // 000000008F78: D8EC5900 90000032
	ds_read_b64 v[146:147], v50 offset:22912                   // 000000008F80: D8EC5980 92000032
	ds_read_b64 v[148:149], v50 offset:23808                   // 000000008F88: D8EC5D00 94000032
	ds_read_b64 v[150:151], v50 offset:23936                   // 000000008F90: D8EC5D80 96000032
	ds_read_b64 v[152:153], v50 offset:24832                   // 000000008F98: D8EC6100 98000032
	ds_read_b64 v[154:155], v50 offset:24960                   // 000000008FA0: D8EC6180 9A000032
	ds_read_b64 v[156:157], v50 offset:25856                   // 000000008FA8: D8EC6500 9C000032
	ds_read_b64 v[158:159], v50 offset:25984                   // 000000008FB0: D8EC6580 9E000032
	ds_read_b64 v[160:161], v50 offset:26880                   // 000000008FB8: D8EC6900 A0000032
	ds_read_b64 v[162:163], v50 offset:27008                   // 000000008FC0: D8EC6980 A2000032
	ds_read_b64 v[164:165], v50 offset:27904                   // 000000008FC8: D8EC6D00 A4000032
	ds_read_b64 v[166:167], v50 offset:28032                   // 000000008FD0: D8EC6D80 A6000032
	ds_read_b64 v[168:169], v50 offset:28928                   // 000000008FD8: D8EC7100 A8000032
	ds_read_b64 v[170:171], v50 offset:29056                   // 000000008FE0: D8EC7180 AA000032
	ds_read_b64 v[172:173], v50 offset:29952                   // 000000008FE8: D8EC7500 AC000032
	ds_read_b64 v[174:175], v50 offset:30080                   // 000000008FF0: D8EC7580 AE000032
	s_add_u32 s12, s56, s12                                    // 000000008FF8: 800C0C38
	s_addc_u32 s13, 0, s13                                     // 000000008FFC: 820D0D80
	s_add_u32 s16, s79, s16                                    // 000000009000: 8010104F
	s_addc_u32 s17, 0, s17                                     // 000000009004: 82111180
	s_mov_b32 s80, 0                                           // 000000009008: BED00080
	s_waitcnt vmcnt(0) expcnt(0) lgkmcnt(0)                    // 00000000900C: BF8C0000

0000000000009010 <label_1884>:
	s_waitcnt vmcnt(37)                                        // 000000009010: BF8C8F75
	s_barrier                                                  // 000000009014: BF8A0000
	v_mfma_f32_16x16x32_fp8_fp8 v[176:179], a[0:1], v[128:129], 0// 000000009018: D3F300B0 0A030100
	buffer_load_dwordx4 a[96:99], v40, s[12:15], 0 offen       // 000000009020: E05C1000 80836028
	v_mfma_f32_16x16x32_fp8_fp8 v[176:179], a[2:3], v[130:131], v[176:179]// 000000009028: D3F300B0 0EC30502
	v_mfma_f32_16x16x32_fp8_fp8 v[180:183], a[0:1], v[152:153], 0// 000000009030: D3F300B4 0A033100
	v_mfma_f32_16x16x32_fp8_fp8 v[180:183], a[2:3], v[154:155], v[180:183]// 000000009038: D3F300B4 0ED33502
	v_mfma_f32_16x16x32_fp8_fp8 v[184:187], a[4:5], v[128:129], 0// 000000009040: D3F300B8 0A030104
	buffer_load_dwordx4 a[100:103], v41, s[12:15], 0 offen     // 000000009048: E05C1000 80836429
	v_mfma_f32_16x16x32_fp8_fp8 v[184:187], a[6:7], v[130:131], v[184:187]// 000000009050: D3F300B8 0EE30506
	v_mfma_f32_16x16x32_fp8_fp8 v[188:191], a[4:5], v[152:153], 0// 000000009058: D3F300BC 0A033104
	v_mfma_f32_16x16x32_fp8_fp8 v[188:191], a[6:7], v[154:155], v[188:191]// 000000009060: D3F300BC 0EF33506
	v_mfma_f32_16x16x32_fp8_fp8 v[192:195], a[8:9], v[128:129], 0// 000000009068: D3F300C0 0A030108
	buffer_load_dwordx4 a[104:107], v42, s[12:15], 0 offen     // 000000009070: E05C1000 8083682A
	v_mfma_f32_16x16x32_fp8_fp8 v[192:195], a[10:11], v[130:131], v[192:195]// 000000009078: D3F300C0 0F03050A
	v_mfma_f32_16x16x32_fp8_fp8 v[196:199], a[8:9], v[152:153], 0// 000000009080: D3F300C4 0A033108
	v_mfma_f32_16x16x32_fp8_fp8 v[196:199], a[10:11], v[154:155], v[196:199]// 000000009088: D3F300C4 0F13350A
	v_mfma_f32_16x16x32_fp8_fp8 v[200:203], a[12:13], v[128:129], 0// 000000009090: D3F300C8 0A03010C
	buffer_load_dwordx4 a[108:111], v43, s[12:15], 0 offen     // 000000009098: E05C1000 80836C2B
	s_add_u32 s12, s78, s12                                    // 0000000090A0: 800C0C4E
	s_addc_u32 s13, 0, s13                                     // 0000000090A4: 820D0D80
	v_mfma_f32_16x16x32_fp8_fp8 v[200:203], a[14:15], v[130:131], v[200:203]// 0000000090A8: D3F300C8 0F23050E
	v_mfma_f32_16x16x32_fp8_fp8 v[204:207], a[12:13], v[152:153], 0// 0000000090B0: D3F300CC 0A03310C
	v_mfma_f32_16x16x32_fp8_fp8 v[204:207], a[14:15], v[154:155], v[204:207]// 0000000090B8: D3F300CC 0F33350E
	s_waitcnt vmcnt(37)                                        // 0000000090C0: BF8C8F75
	v_mfma_f32_16x16x32_fp8_fp8 v[176:179], a[16:17], v[132:133], v[176:179]// 0000000090C4: D3F300B0 0EC30910
	buffer_load_dwordx4 a[112:115], v40, s[12:15], 0 offen     // 0000000090CC: E05C1000 80837028
	v_mfma_f32_16x16x32_fp8_fp8 v[176:179], a[18:19], v[134:135], v[176:179]// 0000000090D4: D3F300B0 0EC30D12
	v_mfma_f32_16x16x32_fp8_fp8 v[180:183], a[16:17], v[156:157], v[180:183]// 0000000090DC: D3F300B4 0ED33910
	v_mfma_f32_16x16x32_fp8_fp8 v[180:183], a[18:19], v[158:159], v[180:183]// 0000000090E4: D3F300B4 0ED33D12
	v_mfma_f32_16x16x32_fp8_fp8 v[184:187], a[20:21], v[132:133], v[184:187]// 0000000090EC: D3F300B8 0EE30914
	buffer_load_dwordx4 a[116:119], v41, s[12:15], 0 offen     // 0000000090F4: E05C1000 80837429
	v_mfma_f32_16x16x32_fp8_fp8 v[184:187], a[22:23], v[134:135], v[184:187]// 0000000090FC: D3F300B8 0EE30D16
	v_mfma_f32_16x16x32_fp8_fp8 v[188:191], a[20:21], v[156:157], v[188:191]// 000000009104: D3F300BC 0EF33914
	v_mfma_f32_16x16x32_fp8_fp8 v[188:191], a[22:23], v[158:159], v[188:191]// 00000000910C: D3F300BC 0EF33D16
	v_mfma_f32_16x16x32_fp8_fp8 v[192:195], a[24:25], v[132:133], v[192:195]// 000000009114: D3F300C0 0F030918
	buffer_load_dwordx4 a[120:123], v42, s[12:15], 0 offen     // 00000000911C: E05C1000 8083782A
	v_mfma_f32_16x16x32_fp8_fp8 v[192:195], a[26:27], v[134:135], v[192:195]// 000000009124: D3F300C0 0F030D1A
	v_mfma_f32_16x16x32_fp8_fp8 v[196:199], a[24:25], v[156:157], v[196:199]// 00000000912C: D3F300C4 0F133918
	v_mfma_f32_16x16x32_fp8_fp8 v[196:199], a[26:27], v[158:159], v[196:199]// 000000009134: D3F300C4 0F133D1A
	v_mfma_f32_16x16x32_fp8_fp8 v[200:203], a[28:29], v[132:133], v[200:203]// 00000000913C: D3F300C8 0F23091C
	buffer_load_dwordx4 a[124:127], v43, s[12:15], 0 offen     // 000000009144: E05C1000 80837C2B
	s_add_u32 s12, s78, s12                                    // 00000000914C: 800C0C4E
	s_addc_u32 s13, 0, s13                                     // 000000009150: 820D0D80
	v_mfma_f32_16x16x32_fp8_fp8 v[200:203], a[30:31], v[134:135], v[200:203]// 000000009154: D3F300C8 0F230D1E
	v_mfma_f32_16x16x32_fp8_fp8 v[204:207], a[28:29], v[156:157], v[204:207]// 00000000915C: D3F300CC 0F33391C
	v_mfma_f32_16x16x32_fp8_fp8 v[204:207], a[30:31], v[158:159], v[204:207]// 000000009164: D3F300CC 0F333D1E
	s_waitcnt vmcnt(37)                                        // 00000000916C: BF8C8F75
	v_mfma_f32_16x16x32_fp8_fp8 v[176:179], a[32:33], v[136:137], v[176:179]// 000000009170: D3F300B0 0EC31120
	buffer_load_dwordx4 a[128:131], v40, s[12:15], 0 offen     // 000000009178: E05C1000 80838028
	v_mfma_f32_16x16x32_fp8_fp8 v[176:179], a[34:35], v[138:139], v[176:179]// 000000009180: D3F300B0 0EC31522
	v_mfma_f32_16x16x32_fp8_fp8 v[180:183], a[32:33], v[160:161], v[180:183]// 000000009188: D3F300B4 0ED34120
	v_mfma_f32_16x16x32_fp8_fp8 v[180:183], a[34:35], v[162:163], v[180:183]// 000000009190: D3F300B4 0ED34522
	v_mfma_f32_16x16x32_fp8_fp8 v[184:187], a[36:37], v[136:137], v[184:187]// 000000009198: D3F300B8 0EE31124
	buffer_load_dwordx4 a[132:135], v41, s[12:15], 0 offen     // 0000000091A0: E05C1000 80838429
	v_mfma_f32_16x16x32_fp8_fp8 v[184:187], a[38:39], v[138:139], v[184:187]// 0000000091A8: D3F300B8 0EE31526
	v_mfma_f32_16x16x32_fp8_fp8 v[188:191], a[36:37], v[160:161], v[188:191]// 0000000091B0: D3F300BC 0EF34124
	v_mfma_f32_16x16x32_fp8_fp8 v[188:191], a[38:39], v[162:163], v[188:191]// 0000000091B8: D3F300BC 0EF34526
	v_mfma_f32_16x16x32_fp8_fp8 v[192:195], a[40:41], v[136:137], v[192:195]// 0000000091C0: D3F300C0 0F031128
	buffer_load_dwordx4 a[136:139], v42, s[12:15], 0 offen     // 0000000091C8: E05C1000 8083882A
	v_mfma_f32_16x16x32_fp8_fp8 v[192:195], a[42:43], v[138:139], v[192:195]// 0000000091D0: D3F300C0 0F03152A
	v_mfma_f32_16x16x32_fp8_fp8 v[196:199], a[40:41], v[160:161], v[196:199]// 0000000091D8: D3F300C4 0F134128
	v_mfma_f32_16x16x32_fp8_fp8 v[196:199], a[42:43], v[162:163], v[196:199]// 0000000091E0: D3F300C4 0F13452A
	v_mfma_f32_16x16x32_fp8_fp8 v[200:203], a[44:45], v[136:137], v[200:203]// 0000000091E8: D3F300C8 0F23112C
	buffer_load_dwordx4 a[140:143], v43, s[12:15], 0 offen     // 0000000091F0: E05C1000 80838C2B
	s_add_u32 s12, s78, s12                                    // 0000000091F8: 800C0C4E
	s_addc_u32 s13, 0, s13                                     // 0000000091FC: 820D0D80
	v_mfma_f32_16x16x32_fp8_fp8 v[200:203], a[46:47], v[138:139], v[200:203]// 000000009200: D3F300C8 0F23152E
	v_mfma_f32_16x16x32_fp8_fp8 v[204:207], a[44:45], v[160:161], v[204:207]// 000000009208: D3F300CC 0F33412C
	v_mfma_f32_16x16x32_fp8_fp8 v[204:207], a[46:47], v[162:163], v[204:207]// 000000009210: D3F300CC 0F33452E
	s_waitcnt vmcnt(37)                                        // 000000009218: BF8C8F75
	v_mfma_f32_16x16x32_fp8_fp8 v[176:179], a[48:49], v[140:141], v[176:179]// 00000000921C: D3F300B0 0EC31930
	buffer_load_dwordx4 a[144:147], v40, s[12:15], 0 offen     // 000000009224: E05C1000 80839028
	v_mfma_f32_16x16x32_fp8_fp8 v[176:179], a[50:51], v[142:143], v[176:179]// 00000000922C: D3F300B0 0EC31D32
	v_mfma_f32_16x16x32_fp8_fp8 v[180:183], a[48:49], v[164:165], v[180:183]// 000000009234: D3F300B4 0ED34930
	v_mfma_f32_16x16x32_fp8_fp8 v[180:183], a[50:51], v[166:167], v[180:183]// 00000000923C: D3F300B4 0ED34D32
	v_mfma_f32_16x16x32_fp8_fp8 v[184:187], a[52:53], v[140:141], v[184:187]// 000000009244: D3F300B8 0EE31934
	buffer_load_dwordx4 a[148:151], v41, s[12:15], 0 offen     // 00000000924C: E05C1000 80839429
	v_mfma_f32_16x16x32_fp8_fp8 v[184:187], a[54:55], v[142:143], v[184:187]// 000000009254: D3F300B8 0EE31D36
	v_mfma_f32_16x16x32_fp8_fp8 v[188:191], a[52:53], v[164:165], v[188:191]// 00000000925C: D3F300BC 0EF34934
	v_mfma_f32_16x16x32_fp8_fp8 v[188:191], a[54:55], v[166:167], v[188:191]// 000000009264: D3F300BC 0EF34D36
	v_mfma_f32_16x16x32_fp8_fp8 v[192:195], a[56:57], v[140:141], v[192:195]// 00000000926C: D3F300C0 0F031938
	buffer_load_dwordx4 a[152:155], v42, s[12:15], 0 offen     // 000000009274: E05C1000 8083982A
	v_mfma_f32_16x16x32_fp8_fp8 v[192:195], a[58:59], v[142:143], v[192:195]// 00000000927C: D3F300C0 0F031D3A
	v_mfma_f32_16x16x32_fp8_fp8 v[196:199], a[56:57], v[164:165], v[196:199]// 000000009284: D3F300C4 0F134938
	v_mfma_f32_16x16x32_fp8_fp8 v[196:199], a[58:59], v[166:167], v[196:199]// 00000000928C: D3F300C4 0F134D3A
	v_mfma_f32_16x16x32_fp8_fp8 v[200:203], a[60:61], v[140:141], v[200:203]// 000000009294: D3F300C8 0F23193C
	buffer_load_dwordx4 a[156:159], v43, s[12:15], 0 offen     // 00000000929C: E05C1000 80839C2B
	s_add_u32 s12, s78, s12                                    // 0000000092A4: 800C0C4E
	s_addc_u32 s13, 0, s13                                     // 0000000092A8: 820D0D80
	v_mfma_f32_16x16x32_fp8_fp8 v[200:203], a[62:63], v[142:143], v[200:203]// 0000000092AC: D3F300C8 0F231D3E
	v_mfma_f32_16x16x32_fp8_fp8 v[204:207], a[60:61], v[164:165], v[204:207]// 0000000092B4: D3F300CC 0F33493C
	v_mfma_f32_16x16x32_fp8_fp8 v[204:207], a[62:63], v[166:167], v[204:207]// 0000000092BC: D3F300CC 0F334D3E
	s_waitcnt vmcnt(37)                                        // 0000000092C4: BF8C8F75
	v_mfma_f32_16x16x32_fp8_fp8 v[176:179], a[64:65], v[144:145], v[176:179]// 0000000092C8: D3F300B0 0EC32140
	buffer_load_dwordx4 a[160:163], v40, s[12:15], 0 offen     // 0000000092D0: E05C1000 8083A028
	v_mfma_f32_16x16x32_fp8_fp8 v[176:179], a[66:67], v[146:147], v[176:179]// 0000000092D8: D3F300B0 0EC32542
	v_mfma_f32_16x16x32_fp8_fp8 v[180:183], a[64:65], v[168:169], v[180:183]// 0000000092E0: D3F300B4 0ED35140
	v_mfma_f32_16x16x32_fp8_fp8 v[180:183], a[66:67], v[170:171], v[180:183]// 0000000092E8: D3F300B4 0ED35542
	v_mfma_f32_16x16x32_fp8_fp8 v[184:187], a[68:69], v[144:145], v[184:187]// 0000000092F0: D3F300B8 0EE32144
	buffer_load_dwordx4 a[164:167], v41, s[12:15], 0 offen     // 0000000092F8: E05C1000 8083A429
	v_mfma_f32_16x16x32_fp8_fp8 v[184:187], a[70:71], v[146:147], v[184:187]// 000000009300: D3F300B8 0EE32546
	v_mfma_f32_16x16x32_fp8_fp8 v[188:191], a[68:69], v[168:169], v[188:191]// 000000009308: D3F300BC 0EF35144
	v_mfma_f32_16x16x32_fp8_fp8 v[188:191], a[70:71], v[170:171], v[188:191]// 000000009310: D3F300BC 0EF35546
	v_mfma_f32_16x16x32_fp8_fp8 v[192:195], a[72:73], v[144:145], v[192:195]// 000000009318: D3F300C0 0F032148
	buffer_load_dwordx4 a[168:171], v42, s[12:15], 0 offen     // 000000009320: E05C1000 8083A82A
	v_mfma_f32_16x16x32_fp8_fp8 v[192:195], a[74:75], v[146:147], v[192:195]// 000000009328: D3F300C0 0F03254A
	v_mfma_f32_16x16x32_fp8_fp8 v[196:199], a[72:73], v[168:169], v[196:199]// 000000009330: D3F300C4 0F135148
	v_mfma_f32_16x16x32_fp8_fp8 v[196:199], a[74:75], v[170:171], v[196:199]// 000000009338: D3F300C4 0F13554A
	v_mfma_f32_16x16x32_fp8_fp8 v[200:203], a[76:77], v[144:145], v[200:203]// 000000009340: D3F300C8 0F23214C
	buffer_load_dwordx4 a[172:175], v43, s[12:15], 0 offen     // 000000009348: E05C1000 8083AC2B
	s_add_u32 s12, s78, s12                                    // 000000009350: 800C0C4E
	s_addc_u32 s13, 0, s13                                     // 000000009354: 820D0D80
	v_mfma_f32_16x16x32_fp8_fp8 v[200:203], a[78:79], v[146:147], v[200:203]// 000000009358: D3F300C8 0F23254E
	v_mfma_f32_16x16x32_fp8_fp8 v[204:207], a[76:77], v[168:169], v[204:207]// 000000009360: D3F300CC 0F33514C
	v_mfma_f32_16x16x32_fp8_fp8 v[204:207], a[78:79], v[170:171], v[204:207]// 000000009368: D3F300CC 0F33554E
	s_waitcnt vmcnt(36)                                        // 000000009370: BF8C8F74
	v_mfma_f32_16x16x32_fp8_fp8 v[176:179], a[80:81], v[148:149], v[176:179]// 000000009374: D3F300B0 0EC32950
	buffer_load_dwordx4 a[176:179], v40, s[12:15], 0 offen     // 00000000937C: E05C1000 8083B028
	v_mfma_f32_16x16x32_fp8_fp8 v[176:179], a[82:83], v[150:151], v[176:179]// 000000009384: D3F300B0 0EC32D52
	v_mfma_f32_16x16x32_fp8_fp8 v[180:183], a[80:81], v[172:173], v[180:183]// 00000000938C: D3F300B4 0ED35950
	buffer_load_dword v13, v5, s[16:19], 0 offen               // 000000009394: E0501000 80040D05
	v_mfma_f32_16x16x32_fp8_fp8 v[180:183], a[82:83], v[174:175], v[180:183]// 00000000939C: D3F300B4 0ED35D52
	v_mfma_f32_16x16x32_fp8_fp8 v[184:187], a[84:85], v[148:149], v[184:187]// 0000000093A4: D3F300B8 0EE32954
	buffer_load_dwordx4 a[180:183], v41, s[12:15], 0 offen     // 0000000093AC: E05C1000 8083B429
	v_mfma_f32_16x16x32_fp8_fp8 v[184:187], a[86:87], v[150:151], v[184:187]// 0000000093B4: D3F300B8 0EE32D56
	v_mfma_f32_16x16x32_fp8_fp8 v[188:191], a[84:85], v[172:173], v[188:191]// 0000000093BC: D3F300BC 0EF35954
	v_mfma_f32_16x16x32_fp8_fp8 v[188:191], a[86:87], v[174:175], v[188:191]// 0000000093C4: D3F300BC 0EF35D56
	v_mfma_f32_16x16x32_fp8_fp8 v[192:195], a[88:89], v[148:149], v[192:195]// 0000000093CC: D3F300C0 0F032958
	buffer_load_dwordx4 a[184:187], v42, s[12:15], 0 offen     // 0000000093D4: E05C1000 8083B82A
	v_mfma_f32_16x16x32_fp8_fp8 v[192:195], a[90:91], v[150:151], v[192:195]// 0000000093DC: D3F300C0 0F032D5A
	v_mfma_f32_16x16x32_fp8_fp8 v[196:199], a[88:89], v[172:173], v[196:199]// 0000000093E4: D3F300C4 0F135958
	v_mfma_f32_16x16x32_fp8_fp8 v[196:199], a[90:91], v[174:175], v[196:199]// 0000000093EC: D3F300C4 0F135D5A
	v_mfma_f32_16x16x32_fp8_fp8 v[200:203], a[92:93], v[148:149], v[200:203]// 0000000093F4: D3F300C8 0F23295C
	buffer_load_dwordx4 a[188:191], v43, s[12:15], 0 offen     // 0000000093FC: E05C1000 8083BC2B
	v_mfma_f32_16x16x32_fp8_fp8 v[200:203], a[94:95], v[150:151], v[200:203]// 000000009404: D3F300C8 0F232D5E
	v_mfma_f32_16x16x32_fp8_fp8 v[204:207], a[92:93], v[172:173], v[204:207]// 00000000940C: D3F300CC 0F33595C
	v_mfma_f32_16x16x32_fp8_fp8 v[204:207], a[94:95], v[174:175], v[204:207]// 000000009414: D3F300CC 0F335D5E
	s_add_u32 s60, 0x200, s80                                  // 00000000941C: 803C50FF 00000200
	s_cmp_lt_u32 s60, s81                                      // 000000009424: BF0A513C
	s_cselect_b32 s56, s56, 0                                  // 000000009428: 85388038
	s_cselect_b32 s78, s78, 0                                  // 00000000942C: 854E804E
	s_cselect_b32 s79, s79, 0                                  // 000000009430: 854F804F
	s_add_u32 s12, s56, s12                                    // 000000009434: 800C0C38
	s_addc_u32 s13, 0, s13                                     // 000000009438: 820D0D80
	s_add_u32 s16, s79, s16                                    // 00000000943C: 8010104F
	s_addc_u32 s17, 0, s17                                     // 000000009440: 82111180
	v_mul_f32_e32 v176, v24, v176                              // 000000009444: 0B616118
	v_mul_f32_e32 v177, v24, v177                              // 000000009448: 0B636318
	v_mul_f32_e32 v178, v24, v178                              // 00000000944C: 0B656518
	v_mul_f32_e32 v179, v24, v179                              // 000000009450: 0B676718
	v_mul_f32_dpp v176, v12, v176 row_newbcast:0 row_mask:0xf bank_mask:0xf// 000000009454: 0B6160FA FF01500C
	v_mul_f32_dpp v177, v12, v177 row_newbcast:1 row_mask:0xf bank_mask:0xf// 00000000945C: 0B6362FA FF01510C
	v_mul_f32_dpp v178, v12, v178 row_newbcast:2 row_mask:0xf bank_mask:0xf// 000000009464: 0B6564FA FF01520C
	v_mul_f32_dpp v179, v12, v179 row_newbcast:3 row_mask:0xf bank_mask:0xf// 00000000946C: 0B6766FA FF01530C
	v_mul_f32_e32 v176, v20, v176                              // 000000009474: 0B616114
	v_mul_f32_e32 v177, v20, v177                              // 000000009478: 0B636314
	v_mul_f32_e32 v178, v20, v178                              // 00000000947C: 0B656514
	v_mul_f32_e32 v179, v20, v179                              // 000000009480: 0B676714
	v_mul_f32_e32 v180, v25, v180                              // 000000009484: 0B696919
	v_mul_f32_e32 v181, v25, v181                              // 000000009488: 0B6B6B19
	v_mul_f32_e32 v182, v25, v182                              // 00000000948C: 0B6D6D19
	v_mul_f32_e32 v183, v25, v183                              // 000000009490: 0B6F6F19
	v_mul_f32_dpp v180, v12, v180 row_newbcast:0 row_mask:0xf bank_mask:0xf// 000000009494: 0B6968FA FF01500C
	v_mul_f32_dpp v181, v12, v181 row_newbcast:1 row_mask:0xf bank_mask:0xf// 00000000949C: 0B6B6AFA FF01510C
	v_mul_f32_dpp v182, v12, v182 row_newbcast:2 row_mask:0xf bank_mask:0xf// 0000000094A4: 0B6D6CFA FF01520C
	v_mul_f32_dpp v183, v12, v183 row_newbcast:3 row_mask:0xf bank_mask:0xf// 0000000094AC: 0B6F6EFA FF01530C
	v_mul_f32_e32 v180, v21, v180                              // 0000000094B4: 0B696915
	v_mul_f32_e32 v181, v21, v181                              // 0000000094B8: 0B6B6B15
	v_mul_f32_e32 v182, v21, v182                              // 0000000094BC: 0B6D6D15
	v_mul_f32_e32 v183, v21, v183                              // 0000000094C0: 0B6F6F15
	v_mul_f32_e32 v184, v24, v184                              // 0000000094C4: 0B717118
	v_mul_f32_e32 v185, v24, v185                              // 0000000094C8: 0B737318
	v_mul_f32_e32 v186, v24, v186                              // 0000000094CC: 0B757518
	v_mul_f32_e32 v187, v24, v187                              // 0000000094D0: 0B777718
	v_mul_f32_dpp v184, v12, v184 row_newbcast:4 row_mask:0xf bank_mask:0xf// 0000000094D4: 0B7170FA FF01540C
	v_mul_f32_dpp v185, v12, v185 row_newbcast:5 row_mask:0xf bank_mask:0xf// 0000000094DC: 0B7372FA FF01550C
	v_mul_f32_dpp v186, v12, v186 row_newbcast:6 row_mask:0xf bank_mask:0xf// 0000000094E4: 0B7574FA FF01560C
	v_mul_f32_dpp v187, v12, v187 row_newbcast:7 row_mask:0xf bank_mask:0xf// 0000000094EC: 0B7776FA FF01570C
	v_mul_f32_e32 v184, v20, v184                              // 0000000094F4: 0B717114
	v_mul_f32_e32 v185, v20, v185                              // 0000000094F8: 0B737314
	v_mul_f32_e32 v186, v20, v186                              // 0000000094FC: 0B757514
	v_mul_f32_e32 v187, v20, v187                              // 000000009500: 0B777714
	v_mul_f32_e32 v188, v25, v188                              // 000000009504: 0B797919
	v_mul_f32_e32 v189, v25, v189                              // 000000009508: 0B7B7B19
	v_mul_f32_e32 v190, v25, v190                              // 00000000950C: 0B7D7D19
	v_mul_f32_e32 v191, v25, v191                              // 000000009510: 0B7F7F19
	v_mul_f32_dpp v188, v12, v188 row_newbcast:4 row_mask:0xf bank_mask:0xf// 000000009514: 0B7978FA FF01540C
	v_mul_f32_dpp v189, v12, v189 row_newbcast:5 row_mask:0xf bank_mask:0xf// 00000000951C: 0B7B7AFA FF01550C
	v_mul_f32_dpp v190, v12, v190 row_newbcast:6 row_mask:0xf bank_mask:0xf// 000000009524: 0B7D7CFA FF01560C
	v_mul_f32_dpp v191, v12, v191 row_newbcast:7 row_mask:0xf bank_mask:0xf// 00000000952C: 0B7F7EFA FF01570C
	v_mul_f32_e32 v188, v21, v188                              // 000000009534: 0B797915
	v_mul_f32_e32 v189, v21, v189                              // 000000009538: 0B7B7B15
	v_mul_f32_e32 v190, v21, v190                              // 00000000953C: 0B7D7D15
	v_mul_f32_e32 v191, v21, v191                              // 000000009540: 0B7F7F15
	v_mul_f32_e32 v192, v24, v192                              // 000000009544: 0B818118
	v_mul_f32_e32 v193, v24, v193                              // 000000009548: 0B838318
	v_mul_f32_e32 v194, v24, v194                              // 00000000954C: 0B858518
	v_mul_f32_e32 v195, v24, v195                              // 000000009550: 0B878718
	v_mul_f32_dpp v192, v12, v192 row_newbcast:8 row_mask:0xf bank_mask:0xf// 000000009554: 0B8180FA FF01580C
	v_mul_f32_dpp v193, v12, v193 row_newbcast:9 row_mask:0xf bank_mask:0xf// 00000000955C: 0B8382FA FF01590C
	v_mul_f32_dpp v194, v12, v194 row_newbcast:10 row_mask:0xf bank_mask:0xf// 000000009564: 0B8584FA FF015A0C
	v_mul_f32_dpp v195, v12, v195 row_newbcast:11 row_mask:0xf bank_mask:0xf// 00000000956C: 0B8786FA FF015B0C
	v_mul_f32_e32 v192, v20, v192                              // 000000009574: 0B818114
	v_mul_f32_e32 v193, v20, v193                              // 000000009578: 0B838314
	v_mul_f32_e32 v194, v20, v194                              // 00000000957C: 0B858514
	v_mul_f32_e32 v195, v20, v195                              // 000000009580: 0B878714
	v_mul_f32_e32 v196, v25, v196                              // 000000009584: 0B898919
	v_mul_f32_e32 v197, v25, v197                              // 000000009588: 0B8B8B19
	v_mul_f32_e32 v198, v25, v198                              // 00000000958C: 0B8D8D19
	v_mul_f32_e32 v199, v25, v199                              // 000000009590: 0B8F8F19
	v_mul_f32_dpp v196, v12, v196 row_newbcast:8 row_mask:0xf bank_mask:0xf// 000000009594: 0B8988FA FF01580C
	v_mul_f32_dpp v197, v12, v197 row_newbcast:9 row_mask:0xf bank_mask:0xf// 00000000959C: 0B8B8AFA FF01590C
	v_mul_f32_dpp v198, v12, v198 row_newbcast:10 row_mask:0xf bank_mask:0xf// 0000000095A4: 0B8D8CFA FF015A0C
	v_mul_f32_dpp v199, v12, v199 row_newbcast:11 row_mask:0xf bank_mask:0xf// 0000000095AC: 0B8F8EFA FF015B0C
	v_mul_f32_e32 v196, v21, v196                              // 0000000095B4: 0B898915
	v_mul_f32_e32 v197, v21, v197                              // 0000000095B8: 0B8B8B15
	v_mul_f32_e32 v198, v21, v198                              // 0000000095BC: 0B8D8D15
	v_mul_f32_e32 v199, v21, v199                              // 0000000095C0: 0B8F8F15
	v_mul_f32_e32 v200, v24, v200                              // 0000000095C4: 0B919118
	v_mul_f32_e32 v201, v24, v201                              // 0000000095C8: 0B939318
	v_mul_f32_e32 v202, v24, v202                              // 0000000095CC: 0B959518
	v_mul_f32_e32 v203, v24, v203                              // 0000000095D0: 0B979718
	v_mul_f32_dpp v200, v12, v200 row_newbcast:12 row_mask:0xf bank_mask:0xf// 0000000095D4: 0B9190FA FF015C0C
	v_mul_f32_dpp v201, v12, v201 row_newbcast:13 row_mask:0xf bank_mask:0xf// 0000000095DC: 0B9392FA FF015D0C
	v_mul_f32_dpp v202, v12, v202 row_newbcast:14 row_mask:0xf bank_mask:0xf// 0000000095E4: 0B9594FA FF015E0C
	v_mul_f32_dpp v203, v12, v203 row_newbcast:15 row_mask:0xf bank_mask:0xf// 0000000095EC: 0B9796FA FF015F0C
	v_mul_f32_e32 v200, v20, v200                              // 0000000095F4: 0B919114
	v_mul_f32_e32 v201, v20, v201                              // 0000000095F8: 0B939314
	v_mul_f32_e32 v202, v20, v202                              // 0000000095FC: 0B959514
	v_mul_f32_e32 v203, v20, v203                              // 000000009600: 0B979714
	v_mul_f32_e32 v204, v25, v204                              // 000000009604: 0B999919
	v_mul_f32_e32 v205, v25, v205                              // 000000009608: 0B9B9B19
	v_mul_f32_e32 v206, v25, v206                              // 00000000960C: 0B9D9D19
	v_mul_f32_e32 v207, v25, v207                              // 000000009610: 0B9F9F19
	v_mul_f32_dpp v204, v12, v204 row_newbcast:12 row_mask:0xf bank_mask:0xf// 000000009614: 0B9998FA FF015C0C
	v_mul_f32_dpp v205, v12, v205 row_newbcast:13 row_mask:0xf bank_mask:0xf// 00000000961C: 0B9B9AFA FF015D0C
	v_mul_f32_dpp v206, v12, v206 row_newbcast:14 row_mask:0xf bank_mask:0xf// 000000009624: 0B9D9CFA FF015E0C
	v_mul_f32_dpp v207, v12, v207 row_newbcast:15 row_mask:0xf bank_mask:0xf// 00000000962C: 0B9F9EFA FF015F0C
	v_mul_f32_e32 v204, v21, v204                              // 000000009634: 0B999915
	v_mul_f32_e32 v205, v21, v205                              // 000000009638: 0B9B9B15
	v_mul_f32_e32 v206, v21, v206                              // 00000000963C: 0B9D9D15
	v_mul_f32_e32 v207, v21, v207                              // 000000009640: 0B9F9F15
	v_cvt_pkrtz_f16_f32 v176, v176, v177                       // 000000009644: D29600B0 000363B0
	v_cvt_pkrtz_f16_f32 v177, v178, v179                       // 00000000964C: D29600B1 000367B2
	v_cvt_pkrtz_f16_f32 v178, v180, v181                       // 000000009654: D29600B2 00036BB4
	v_cvt_pkrtz_f16_f32 v179, v182, v183                       // 00000000965C: D29600B3 00036FB6
	v_cvt_pkrtz_f16_f32 v180, v184, v185                       // 000000009664: D29600B4 000373B8
	v_cvt_pkrtz_f16_f32 v181, v186, v187                       // 00000000966C: D29600B5 000377BA
	v_cvt_pkrtz_f16_f32 v182, v188, v189                       // 000000009674: D29600B6 00037BBC
	v_cvt_pkrtz_f16_f32 v183, v190, v191                       // 00000000967C: D29600B7 00037FBE
	v_cvt_pkrtz_f16_f32 v184, v192, v193                       // 000000009684: D29600B8 000383C0
	v_cvt_pkrtz_f16_f32 v185, v194, v195                       // 00000000968C: D29600B9 000387C2
	v_cvt_pkrtz_f16_f32 v186, v196, v197                       // 000000009694: D29600BA 00038BC4
	v_cvt_pkrtz_f16_f32 v187, v198, v199                       // 00000000969C: D29600BB 00038FC6
	v_cvt_pkrtz_f16_f32 v188, v200, v201                       // 0000000096A4: D29600BC 000393C8
	v_cvt_pkrtz_f16_f32 v189, v202, v203                       // 0000000096AC: D29600BD 000397CA
	v_cvt_pkrtz_f16_f32 v190, v204, v205                       // 0000000096B4: D29600BE 00039BCC
	v_cvt_pkrtz_f16_f32 v191, v206, v207                       // 0000000096BC: D29600BF 00039FCE
	ds_write_b64 v3, v[176:177] offset:30976                   // 0000000096C4: D89A7900 0000B003
	ds_write_b64 v3, v[178:179] offset:39680                   // 0000000096CC: D89A9B00 0000B203
	ds_write_b64 v3, v[180:181] offset:33152                   // 0000000096D4: D89A8180 0000B403
	ds_write_b64 v3, v[182:183] offset:41856                   // 0000000096DC: D89AA380 0000B603
	ds_write_b64 v3, v[184:185] offset:35328                   // 0000000096E4: D89A8A00 0000B803
	ds_write_b64 v3, v[186:187] offset:44032                   // 0000000096EC: D89AAC00 0000BA03
	ds_write_b64 v3, v[188:189] offset:37504                   // 0000000096F4: D89A9280 0000BC03
	ds_write_b64 v3, v[190:191] offset:46208                   // 0000000096FC: D89AB480 0000BE03
	s_waitcnt lgkmcnt(0)                                       // 000000009704: BF8CC07F
	s_barrier                                                  // 000000009708: BF8A0000
	ds_read_b32 v64, v4 offset:30976                           // 00000000970C: D86C7900 40000004
	ds_read_b32 v65, v4 offset:35328                           // 000000009714: D86C8A00 41000004
	ds_read_b32 v66, v4 offset:31008                           // 00000000971C: D86C7920 42000004
	ds_read_b32 v67, v4 offset:35360                           // 000000009724: D86C8A20 43000004
	ds_read_b32 v68, v4 offset:31040                           // 00000000972C: D86C7940 44000004
	ds_read_b32 v69, v4 offset:35392                           // 000000009734: D86C8A40 45000004
	ds_read_b32 v70, v4 offset:31072                           // 00000000973C: D86C7960 46000004
	ds_read_b32 v71, v4 offset:35424                           // 000000009744: D86C8A60 47000004
	ds_read_b32 v72, v4 offset:39680                           // 00000000974C: D86C9B00 48000004
	ds_read_b32 v73, v4 offset:44032                           // 000000009754: D86CAC00 49000004
	ds_read_b32 v74, v4 offset:39712                           // 00000000975C: D86C9B20 4A000004
	ds_read_b32 v75, v4 offset:44064                           // 000000009764: D86CAC20 4B000004
	ds_read_b32 v76, v4 offset:39744                           // 00000000976C: D86C9B40 4C000004
	ds_read_b32 v77, v4 offset:44096                           // 000000009774: D86CAC40 4D000004
	ds_read_b32 v78, v4 offset:39776                           // 00000000977C: D86C9B60 4E000004
	ds_read_b32 v79, v4 offset:44128                           // 000000009784: D86CAC60 4F000004
	s_waitcnt lgkmcnt(0)                                       // 00000000978C: BF8CC07F
	s_mov_b64 exec, s[20:21]                                   // 000000009790: BEFE0114
	global_atomic_pk_add_f16 v80, v64, s[8:9]                  // 000000009794: DD388000 00084050
	s_mov_b64 exec, s[36:37]                                   // 00000000979C: BEFE0124
	s_mov_b64 exec, s[20:21]                                   // 0000000097A0: BEFE0114
	global_atomic_pk_add_f16 v80, v65, s[8:9] offset:256       // 0000000097A4: DD388100 00084150
	s_mov_b64 exec, s[36:37]                                   // 0000000097AC: BEFE0124
	s_mov_b64 exec, s[22:23]                                   // 0000000097B0: BEFE0116
	global_atomic_pk_add_f16 v82, v66, s[8:9]                  // 0000000097B4: DD388000 00084252
	s_mov_b64 exec, s[36:37]                                   // 0000000097BC: BEFE0124
	s_mov_b64 exec, s[22:23]                                   // 0000000097C0: BEFE0116
	global_atomic_pk_add_f16 v82, v67, s[8:9] offset:256       // 0000000097C4: DD388100 00084352
	s_mov_b64 exec, s[36:37]                                   // 0000000097CC: BEFE0124
	s_mov_b64 exec, s[24:25]                                   // 0000000097D0: BEFE0118
	global_atomic_pk_add_f16 v84, v68, s[8:9]                  // 0000000097D4: DD388000 00084454
	s_mov_b64 exec, s[36:37]                                   // 0000000097DC: BEFE0124
	s_mov_b64 exec, s[24:25]                                   // 0000000097E0: BEFE0118
	global_atomic_pk_add_f16 v84, v69, s[8:9] offset:256       // 0000000097E4: DD388100 00084554
	s_mov_b64 exec, s[36:37]                                   // 0000000097EC: BEFE0124
	s_mov_b64 exec, s[26:27]                                   // 0000000097F0: BEFE011A
	global_atomic_pk_add_f16 v86, v70, s[8:9]                  // 0000000097F4: DD388000 00084656
	s_mov_b64 exec, s[36:37]                                   // 0000000097FC: BEFE0124
	s_mov_b64 exec, s[26:27]                                   // 000000009800: BEFE011A
	global_atomic_pk_add_f16 v86, v71, s[8:9] offset:256       // 000000009804: DD388100 00084756
	s_mov_b64 exec, s[36:37]                                   // 00000000980C: BEFE0124
	s_mov_b64 exec, s[28:29]                                   // 000000009810: BEFE011C
	global_atomic_pk_add_f16 v88, v72, s[8:9]                  // 000000009814: DD388000 00084858
	s_mov_b64 exec, s[36:37]                                   // 00000000981C: BEFE0124
	s_mov_b64 exec, s[28:29]                                   // 000000009820: BEFE011C
	global_atomic_pk_add_f16 v88, v73, s[8:9] offset:256       // 000000009824: DD388100 00084958
	s_mov_b64 exec, s[36:37]                                   // 00000000982C: BEFE0124
	s_mov_b64 exec, s[30:31]                                   // 000000009830: BEFE011E
	global_atomic_pk_add_f16 v90, v74, s[8:9]                  // 000000009834: DD388000 00084A5A
	s_mov_b64 exec, s[36:37]                                   // 00000000983C: BEFE0124
	s_mov_b64 exec, s[30:31]                                   // 000000009840: BEFE011E
	global_atomic_pk_add_f16 v90, v75, s[8:9] offset:256       // 000000009844: DD388100 00084B5A
	s_mov_b64 exec, s[36:37]                                   // 00000000984C: BEFE0124
	s_mov_b64 exec, s[32:33]                                   // 000000009850: BEFE0120
	global_atomic_pk_add_f16 v92, v76, s[8:9]                  // 000000009854: DD388000 00084C5C
	s_mov_b64 exec, s[36:37]                                   // 00000000985C: BEFE0124
	s_mov_b64 exec, s[32:33]                                   // 000000009860: BEFE0120
	global_atomic_pk_add_f16 v92, v77, s[8:9] offset:256       // 000000009864: DD388100 00084D5C
	s_mov_b64 exec, s[36:37]                                   // 00000000986C: BEFE0124
	s_mov_b64 exec, s[34:35]                                   // 000000009870: BEFE0122
	global_atomic_pk_add_f16 v94, v78, s[8:9]                  // 000000009874: DD388000 00084E5E
	s_mov_b64 exec, s[36:37]                                   // 00000000987C: BEFE0124
	s_mov_b64 exec, s[34:35]                                   // 000000009880: BEFE0122
	global_atomic_pk_add_f16 v94, v79, s[8:9] offset:256       // 000000009884: DD388100 00084F5E
	s_mov_b64 exec, s[36:37]                                   // 00000000988C: BEFE0124
	s_add_u32 s8, s59, s8                                      // 000000009890: 8008083B
	s_addc_u32 s9, 0, s9                                       // 000000009894: 82090980
	s_addk_i32 s80, 0x100                                      // 000000009898: B7500100
	s_cmp_lt_i32 s80, s81                                      // 00000000989C: BF045150
	s_cbranch_scc0 label_0FC8                                  // 0000000098A0: BF84F51F
	s_waitcnt vmcnt(37)                                        // 0000000098A4: BF8C8F75
	s_barrier                                                  // 0000000098A8: BF8A0000
	v_mfma_f32_16x16x32_fp8_fp8 v[208:211], a[96:97], v[128:129], 0// 0000000098AC: D3F300D0 0A030160
	buffer_load_dwordx4 a[0:3], v40, s[12:15], 0 offen         // 0000000098B4: E05C1000 80830028
	v_mfma_f32_16x16x32_fp8_fp8 v[208:211], a[98:99], v[130:131], v[208:211]// 0000000098BC: D3F300D0 0F430562
	v_mfma_f32_16x16x32_fp8_fp8 v[212:215], a[96:97], v[152:153], 0// 0000000098C4: D3F300D4 0A033160
	v_mfma_f32_16x16x32_fp8_fp8 v[212:215], a[98:99], v[154:155], v[212:215]// 0000000098CC: D3F300D4 0F533562
	v_mfma_f32_16x16x32_fp8_fp8 v[216:219], a[100:101], v[128:129], 0// 0000000098D4: D3F300D8 0A030164
	buffer_load_dwordx4 a[4:7], v41, s[12:15], 0 offen         // 0000000098DC: E05C1000 80830429
	v_mfma_f32_16x16x32_fp8_fp8 v[216:219], a[102:103], v[130:131], v[216:219]// 0000000098E4: D3F300D8 0F630566
	v_mfma_f32_16x16x32_fp8_fp8 v[220:223], a[100:101], v[152:153], 0// 0000000098EC: D3F300DC 0A033164
	v_mfma_f32_16x16x32_fp8_fp8 v[220:223], a[102:103], v[154:155], v[220:223]// 0000000098F4: D3F300DC 0F733566
	v_mfma_f32_16x16x32_fp8_fp8 v[224:227], a[104:105], v[128:129], 0// 0000000098FC: D3F300E0 0A030168
	buffer_load_dwordx4 a[8:11], v42, s[12:15], 0 offen        // 000000009904: E05C1000 8083082A
	v_mfma_f32_16x16x32_fp8_fp8 v[224:227], a[106:107], v[130:131], v[224:227]// 00000000990C: D3F300E0 0F83056A
	v_mfma_f32_16x16x32_fp8_fp8 v[228:231], a[104:105], v[152:153], 0// 000000009914: D3F300E4 0A033168
	v_mfma_f32_16x16x32_fp8_fp8 v[228:231], a[106:107], v[154:155], v[228:231]// 00000000991C: D3F300E4 0F93356A
	v_mfma_f32_16x16x32_fp8_fp8 v[232:235], a[108:109], v[128:129], 0// 000000009924: D3F300E8 0A03016C
	buffer_load_dwordx4 a[12:15], v43, s[12:15], 0 offen       // 00000000992C: E05C1000 80830C2B
	s_add_u32 s12, s78, s12                                    // 000000009934: 800C0C4E
	s_addc_u32 s13, 0, s13                                     // 000000009938: 820D0D80
	v_mfma_f32_16x16x32_fp8_fp8 v[232:235], a[110:111], v[130:131], v[232:235]// 00000000993C: D3F300E8 0FA3056E
	v_mfma_f32_16x16x32_fp8_fp8 v[236:239], a[108:109], v[152:153], 0// 000000009944: D3F300EC 0A03316C
	v_mfma_f32_16x16x32_fp8_fp8 v[236:239], a[110:111], v[154:155], v[236:239]// 00000000994C: D3F300EC 0FB3356E
	s_waitcnt vmcnt(37)                                        // 000000009954: BF8C8F75
	v_mfma_f32_16x16x32_fp8_fp8 v[208:211], a[112:113], v[132:133], v[208:211]// 000000009958: D3F300D0 0F430970
	buffer_load_dwordx4 a[16:19], v40, s[12:15], 0 offen       // 000000009960: E05C1000 80831028
	v_mfma_f32_16x16x32_fp8_fp8 v[208:211], a[114:115], v[134:135], v[208:211]// 000000009968: D3F300D0 0F430D72
	v_mfma_f32_16x16x32_fp8_fp8 v[212:215], a[112:113], v[156:157], v[212:215]// 000000009970: D3F300D4 0F533970
	v_mfma_f32_16x16x32_fp8_fp8 v[212:215], a[114:115], v[158:159], v[212:215]// 000000009978: D3F300D4 0F533D72
	v_mfma_f32_16x16x32_fp8_fp8 v[216:219], a[116:117], v[132:133], v[216:219]// 000000009980: D3F300D8 0F630974
	buffer_load_dwordx4 a[20:23], v41, s[12:15], 0 offen       // 000000009988: E05C1000 80831429
	v_mfma_f32_16x16x32_fp8_fp8 v[216:219], a[118:119], v[134:135], v[216:219]// 000000009990: D3F300D8 0F630D76
	v_mfma_f32_16x16x32_fp8_fp8 v[220:223], a[116:117], v[156:157], v[220:223]// 000000009998: D3F300DC 0F733974
	v_mfma_f32_16x16x32_fp8_fp8 v[220:223], a[118:119], v[158:159], v[220:223]// 0000000099A0: D3F300DC 0F733D76
	v_mfma_f32_16x16x32_fp8_fp8 v[224:227], a[120:121], v[132:133], v[224:227]// 0000000099A8: D3F300E0 0F830978
	buffer_load_dwordx4 a[24:27], v42, s[12:15], 0 offen       // 0000000099B0: E05C1000 8083182A
	v_mfma_f32_16x16x32_fp8_fp8 v[224:227], a[122:123], v[134:135], v[224:227]// 0000000099B8: D3F300E0 0F830D7A
	v_mfma_f32_16x16x32_fp8_fp8 v[228:231], a[120:121], v[156:157], v[228:231]// 0000000099C0: D3F300E4 0F933978
	v_mfma_f32_16x16x32_fp8_fp8 v[228:231], a[122:123], v[158:159], v[228:231]// 0000000099C8: D3F300E4 0F933D7A
	v_mfma_f32_16x16x32_fp8_fp8 v[232:235], a[124:125], v[132:133], v[232:235]// 0000000099D0: D3F300E8 0FA3097C
	buffer_load_dwordx4 a[28:31], v43, s[12:15], 0 offen       // 0000000099D8: E05C1000 80831C2B
	s_add_u32 s12, s78, s12                                    // 0000000099E0: 800C0C4E
	s_addc_u32 s13, 0, s13                                     // 0000000099E4: 820D0D80
	v_mfma_f32_16x16x32_fp8_fp8 v[232:235], a[126:127], v[134:135], v[232:235]// 0000000099E8: D3F300E8 0FA30D7E
	v_mfma_f32_16x16x32_fp8_fp8 v[236:239], a[124:125], v[156:157], v[236:239]// 0000000099F0: D3F300EC 0FB3397C
	v_mfma_f32_16x16x32_fp8_fp8 v[236:239], a[126:127], v[158:159], v[236:239]// 0000000099F8: D3F300EC 0FB33D7E
	s_waitcnt vmcnt(37)                                        // 000000009A00: BF8C8F75
	v_mfma_f32_16x16x32_fp8_fp8 v[208:211], a[128:129], v[136:137], v[208:211]// 000000009A04: D3F300D0 0F431180
	buffer_load_dwordx4 a[32:35], v40, s[12:15], 0 offen       // 000000009A0C: E05C1000 80832028
	v_mfma_f32_16x16x32_fp8_fp8 v[208:211], a[130:131], v[138:139], v[208:211]// 000000009A14: D3F300D0 0F431582
	v_mfma_f32_16x16x32_fp8_fp8 v[212:215], a[128:129], v[160:161], v[212:215]// 000000009A1C: D3F300D4 0F534180
	v_mfma_f32_16x16x32_fp8_fp8 v[212:215], a[130:131], v[162:163], v[212:215]// 000000009A24: D3F300D4 0F534582
	v_mfma_f32_16x16x32_fp8_fp8 v[216:219], a[132:133], v[136:137], v[216:219]// 000000009A2C: D3F300D8 0F631184
	buffer_load_dwordx4 a[36:39], v41, s[12:15], 0 offen       // 000000009A34: E05C1000 80832429
	v_mfma_f32_16x16x32_fp8_fp8 v[216:219], a[134:135], v[138:139], v[216:219]// 000000009A3C: D3F300D8 0F631586
	v_mfma_f32_16x16x32_fp8_fp8 v[220:223], a[132:133], v[160:161], v[220:223]// 000000009A44: D3F300DC 0F734184
	v_mfma_f32_16x16x32_fp8_fp8 v[220:223], a[134:135], v[162:163], v[220:223]// 000000009A4C: D3F300DC 0F734586
	v_mfma_f32_16x16x32_fp8_fp8 v[224:227], a[136:137], v[136:137], v[224:227]// 000000009A54: D3F300E0 0F831188
	buffer_load_dwordx4 a[40:43], v42, s[12:15], 0 offen       // 000000009A5C: E05C1000 8083282A
	v_mfma_f32_16x16x32_fp8_fp8 v[224:227], a[138:139], v[138:139], v[224:227]// 000000009A64: D3F300E0 0F83158A
	v_mfma_f32_16x16x32_fp8_fp8 v[228:231], a[136:137], v[160:161], v[228:231]// 000000009A6C: D3F300E4 0F934188
	v_mfma_f32_16x16x32_fp8_fp8 v[228:231], a[138:139], v[162:163], v[228:231]// 000000009A74: D3F300E4 0F93458A
	v_mfma_f32_16x16x32_fp8_fp8 v[232:235], a[140:141], v[136:137], v[232:235]// 000000009A7C: D3F300E8 0FA3118C
	buffer_load_dwordx4 a[44:47], v43, s[12:15], 0 offen       // 000000009A84: E05C1000 80832C2B
	s_add_u32 s12, s78, s12                                    // 000000009A8C: 800C0C4E
	s_addc_u32 s13, 0, s13                                     // 000000009A90: 820D0D80
	v_mfma_f32_16x16x32_fp8_fp8 v[232:235], a[142:143], v[138:139], v[232:235]// 000000009A94: D3F300E8 0FA3158E
	v_mfma_f32_16x16x32_fp8_fp8 v[236:239], a[140:141], v[160:161], v[236:239]// 000000009A9C: D3F300EC 0FB3418C
	v_mfma_f32_16x16x32_fp8_fp8 v[236:239], a[142:143], v[162:163], v[236:239]// 000000009AA4: D3F300EC 0FB3458E
	s_waitcnt vmcnt(37)                                        // 000000009AAC: BF8C8F75
	v_mfma_f32_16x16x32_fp8_fp8 v[208:211], a[144:145], v[140:141], v[208:211]// 000000009AB0: D3F300D0 0F431990
	buffer_load_dwordx4 a[48:51], v40, s[12:15], 0 offen       // 000000009AB8: E05C1000 80833028
	v_mfma_f32_16x16x32_fp8_fp8 v[208:211], a[146:147], v[142:143], v[208:211]// 000000009AC0: D3F300D0 0F431D92
	v_mfma_f32_16x16x32_fp8_fp8 v[212:215], a[144:145], v[164:165], v[212:215]// 000000009AC8: D3F300D4 0F534990
	v_mfma_f32_16x16x32_fp8_fp8 v[212:215], a[146:147], v[166:167], v[212:215]// 000000009AD0: D3F300D4 0F534D92
	v_mfma_f32_16x16x32_fp8_fp8 v[216:219], a[148:149], v[140:141], v[216:219]// 000000009AD8: D3F300D8 0F631994
	buffer_load_dwordx4 a[52:55], v41, s[12:15], 0 offen       // 000000009AE0: E05C1000 80833429
	v_mfma_f32_16x16x32_fp8_fp8 v[216:219], a[150:151], v[142:143], v[216:219]// 000000009AE8: D3F300D8 0F631D96
	v_mfma_f32_16x16x32_fp8_fp8 v[220:223], a[148:149], v[164:165], v[220:223]// 000000009AF0: D3F300DC 0F734994
	v_mfma_f32_16x16x32_fp8_fp8 v[220:223], a[150:151], v[166:167], v[220:223]// 000000009AF8: D3F300DC 0F734D96
	v_mfma_f32_16x16x32_fp8_fp8 v[224:227], a[152:153], v[140:141], v[224:227]// 000000009B00: D3F300E0 0F831998
	buffer_load_dwordx4 a[56:59], v42, s[12:15], 0 offen       // 000000009B08: E05C1000 8083382A
	v_mfma_f32_16x16x32_fp8_fp8 v[224:227], a[154:155], v[142:143], v[224:227]// 000000009B10: D3F300E0 0F831D9A
	v_mfma_f32_16x16x32_fp8_fp8 v[228:231], a[152:153], v[164:165], v[228:231]// 000000009B18: D3F300E4 0F934998
	v_mfma_f32_16x16x32_fp8_fp8 v[228:231], a[154:155], v[166:167], v[228:231]// 000000009B20: D3F300E4 0F934D9A
	v_mfma_f32_16x16x32_fp8_fp8 v[232:235], a[156:157], v[140:141], v[232:235]// 000000009B28: D3F300E8 0FA3199C
	buffer_load_dwordx4 a[60:63], v43, s[12:15], 0 offen       // 000000009B30: E05C1000 80833C2B
	s_add_u32 s12, s78, s12                                    // 000000009B38: 800C0C4E
	s_addc_u32 s13, 0, s13                                     // 000000009B3C: 820D0D80
	v_mfma_f32_16x16x32_fp8_fp8 v[232:235], a[158:159], v[142:143], v[232:235]// 000000009B40: D3F300E8 0FA31D9E
	v_mfma_f32_16x16x32_fp8_fp8 v[236:239], a[156:157], v[164:165], v[236:239]// 000000009B48: D3F300EC 0FB3499C
	v_mfma_f32_16x16x32_fp8_fp8 v[236:239], a[158:159], v[166:167], v[236:239]// 000000009B50: D3F300EC 0FB34D9E
	s_waitcnt vmcnt(37)                                        // 000000009B58: BF8C8F75
	v_mfma_f32_16x16x32_fp8_fp8 v[208:211], a[160:161], v[144:145], v[208:211]// 000000009B5C: D3F300D0 0F4321A0
	buffer_load_dwordx4 a[64:67], v40, s[12:15], 0 offen       // 000000009B64: E05C1000 80834028
	v_mfma_f32_16x16x32_fp8_fp8 v[208:211], a[162:163], v[146:147], v[208:211]// 000000009B6C: D3F300D0 0F4325A2
	v_mfma_f32_16x16x32_fp8_fp8 v[212:215], a[160:161], v[168:169], v[212:215]// 000000009B74: D3F300D4 0F5351A0
	v_mfma_f32_16x16x32_fp8_fp8 v[212:215], a[162:163], v[170:171], v[212:215]// 000000009B7C: D3F300D4 0F5355A2
	v_mfma_f32_16x16x32_fp8_fp8 v[216:219], a[164:165], v[144:145], v[216:219]// 000000009B84: D3F300D8 0F6321A4
	buffer_load_dwordx4 a[68:71], v41, s[12:15], 0 offen       // 000000009B8C: E05C1000 80834429
	v_mfma_f32_16x16x32_fp8_fp8 v[216:219], a[166:167], v[146:147], v[216:219]// 000000009B94: D3F300D8 0F6325A6
	v_mfma_f32_16x16x32_fp8_fp8 v[220:223], a[164:165], v[168:169], v[220:223]// 000000009B9C: D3F300DC 0F7351A4
	v_mfma_f32_16x16x32_fp8_fp8 v[220:223], a[166:167], v[170:171], v[220:223]// 000000009BA4: D3F300DC 0F7355A6
	v_mfma_f32_16x16x32_fp8_fp8 v[224:227], a[168:169], v[144:145], v[224:227]// 000000009BAC: D3F300E0 0F8321A8
	buffer_load_dwordx4 a[72:75], v42, s[12:15], 0 offen       // 000000009BB4: E05C1000 8083482A
	v_mfma_f32_16x16x32_fp8_fp8 v[224:227], a[170:171], v[146:147], v[224:227]// 000000009BBC: D3F300E0 0F8325AA
	v_mfma_f32_16x16x32_fp8_fp8 v[228:231], a[168:169], v[168:169], v[228:231]// 000000009BC4: D3F300E4 0F9351A8
	v_mfma_f32_16x16x32_fp8_fp8 v[228:231], a[170:171], v[170:171], v[228:231]// 000000009BCC: D3F300E4 0F9355AA
	v_mfma_f32_16x16x32_fp8_fp8 v[232:235], a[172:173], v[144:145], v[232:235]// 000000009BD4: D3F300E8 0FA321AC
	buffer_load_dwordx4 a[76:79], v43, s[12:15], 0 offen       // 000000009BDC: E05C1000 80834C2B
	s_add_u32 s12, s78, s12                                    // 000000009BE4: 800C0C4E
	s_addc_u32 s13, 0, s13                                     // 000000009BE8: 820D0D80
	v_mfma_f32_16x16x32_fp8_fp8 v[232:235], a[174:175], v[146:147], v[232:235]// 000000009BEC: D3F300E8 0FA325AE
	v_mfma_f32_16x16x32_fp8_fp8 v[236:239], a[172:173], v[168:169], v[236:239]// 000000009BF4: D3F300EC 0FB351AC
	v_mfma_f32_16x16x32_fp8_fp8 v[236:239], a[174:175], v[170:171], v[236:239]// 000000009BFC: D3F300EC 0FB355AE
	s_waitcnt vmcnt(36)                                        // 000000009C04: BF8C8F74
	v_mfma_f32_16x16x32_fp8_fp8 v[208:211], a[176:177], v[148:149], v[208:211]// 000000009C08: D3F300D0 0F4329B0
	buffer_load_dwordx4 a[80:83], v40, s[12:15], 0 offen       // 000000009C10: E05C1000 80835028
	v_mfma_f32_16x16x32_fp8_fp8 v[208:211], a[178:179], v[150:151], v[208:211]// 000000009C18: D3F300D0 0F432DB2
	v_mfma_f32_16x16x32_fp8_fp8 v[212:215], a[176:177], v[172:173], v[212:215]// 000000009C20: D3F300D4 0F5359B0
	buffer_load_dword v12, v5, s[16:19], 0 offen               // 000000009C28: E0501000 80040C05
	v_mfma_f32_16x16x32_fp8_fp8 v[212:215], a[178:179], v[174:175], v[212:215]// 000000009C30: D3F300D4 0F535DB2
	v_mfma_f32_16x16x32_fp8_fp8 v[216:219], a[180:181], v[148:149], v[216:219]// 000000009C38: D3F300D8 0F6329B4
	buffer_load_dwordx4 a[84:87], v41, s[12:15], 0 offen       // 000000009C40: E05C1000 80835429
	v_mfma_f32_16x16x32_fp8_fp8 v[216:219], a[182:183], v[150:151], v[216:219]// 000000009C48: D3F300D8 0F632DB6
	v_mfma_f32_16x16x32_fp8_fp8 v[220:223], a[180:181], v[172:173], v[220:223]// 000000009C50: D3F300DC 0F7359B4
	v_mfma_f32_16x16x32_fp8_fp8 v[220:223], a[182:183], v[174:175], v[220:223]// 000000009C58: D3F300DC 0F735DB6
	v_mfma_f32_16x16x32_fp8_fp8 v[224:227], a[184:185], v[148:149], v[224:227]// 000000009C60: D3F300E0 0F8329B8
	buffer_load_dwordx4 a[88:91], v42, s[12:15], 0 offen       // 000000009C68: E05C1000 8083582A
	v_mfma_f32_16x16x32_fp8_fp8 v[224:227], a[186:187], v[150:151], v[224:227]// 000000009C70: D3F300E0 0F832DBA
	v_mfma_f32_16x16x32_fp8_fp8 v[228:231], a[184:185], v[172:173], v[228:231]// 000000009C78: D3F300E4 0F9359B8
	v_mfma_f32_16x16x32_fp8_fp8 v[228:231], a[186:187], v[174:175], v[228:231]// 000000009C80: D3F300E4 0F935DBA
	v_mfma_f32_16x16x32_fp8_fp8 v[232:235], a[188:189], v[148:149], v[232:235]// 000000009C88: D3F300E8 0FA329BC
	buffer_load_dwordx4 a[92:95], v43, s[12:15], 0 offen       // 000000009C90: E05C1000 80835C2B
	v_mfma_f32_16x16x32_fp8_fp8 v[232:235], a[190:191], v[150:151], v[232:235]// 000000009C98: D3F300E8 0FA32DBE
	v_mfma_f32_16x16x32_fp8_fp8 v[236:239], a[188:189], v[172:173], v[236:239]// 000000009CA0: D3F300EC 0FB359BC
	v_mfma_f32_16x16x32_fp8_fp8 v[236:239], a[190:191], v[174:175], v[236:239]// 000000009CA8: D3F300EC 0FB35DBE
	s_add_u32 s60, 0x200, s80                                  // 000000009CB0: 803C50FF 00000200
	s_cmp_lt_u32 s60, s81                                      // 000000009CB8: BF0A513C
	s_cselect_b32 s56, s56, 0                                  // 000000009CBC: 85388038
	s_cselect_b32 s78, s78, 0                                  // 000000009CC0: 854E804E
	s_cselect_b32 s79, s79, 0                                  // 000000009CC4: 854F804F
	s_add_u32 s12, s56, s12                                    // 000000009CC8: 800C0C38
	s_addc_u32 s13, 0, s13                                     // 000000009CCC: 820D0D80
	s_add_u32 s16, s79, s16                                    // 000000009CD0: 8010104F
	s_addc_u32 s17, 0, s17                                     // 000000009CD4: 82111180
	v_mul_f32_e32 v208, v24, v208                              // 000000009CD8: 0BA1A118
	v_mul_f32_e32 v209, v24, v209                              // 000000009CDC: 0BA3A318
	v_mul_f32_e32 v210, v24, v210                              // 000000009CE0: 0BA5A518
	v_mul_f32_e32 v211, v24, v211                              // 000000009CE4: 0BA7A718
	v_mul_f32_dpp v208, v13, v208 row_newbcast:0 row_mask:0xf bank_mask:0xf// 000000009CE8: 0BA1A0FA FF01500D
	v_mul_f32_dpp v209, v13, v209 row_newbcast:1 row_mask:0xf bank_mask:0xf// 000000009CF0: 0BA3A2FA FF01510D
	v_mul_f32_dpp v210, v13, v210 row_newbcast:2 row_mask:0xf bank_mask:0xf// 000000009CF8: 0BA5A4FA FF01520D
	v_mul_f32_dpp v211, v13, v211 row_newbcast:3 row_mask:0xf bank_mask:0xf// 000000009D00: 0BA7A6FA FF01530D
	v_mul_f32_e32 v208, v20, v208                              // 000000009D08: 0BA1A114
	v_mul_f32_e32 v209, v20, v209                              // 000000009D0C: 0BA3A314
	v_mul_f32_e32 v210, v20, v210                              // 000000009D10: 0BA5A514
	v_mul_f32_e32 v211, v20, v211                              // 000000009D14: 0BA7A714
	v_mul_f32_e32 v212, v25, v212                              // 000000009D18: 0BA9A919
	v_mul_f32_e32 v213, v25, v213                              // 000000009D1C: 0BABAB19
	v_mul_f32_e32 v214, v25, v214                              // 000000009D20: 0BADAD19
	v_mul_f32_e32 v215, v25, v215                              // 000000009D24: 0BAFAF19
	v_mul_f32_dpp v212, v13, v212 row_newbcast:0 row_mask:0xf bank_mask:0xf// 000000009D28: 0BA9A8FA FF01500D
	v_mul_f32_dpp v213, v13, v213 row_newbcast:1 row_mask:0xf bank_mask:0xf// 000000009D30: 0BABAAFA FF01510D
	v_mul_f32_dpp v214, v13, v214 row_newbcast:2 row_mask:0xf bank_mask:0xf// 000000009D38: 0BADACFA FF01520D
	v_mul_f32_dpp v215, v13, v215 row_newbcast:3 row_mask:0xf bank_mask:0xf// 000000009D40: 0BAFAEFA FF01530D
	v_mul_f32_e32 v212, v21, v212                              // 000000009D48: 0BA9A915
	v_mul_f32_e32 v213, v21, v213                              // 000000009D4C: 0BABAB15
	v_mul_f32_e32 v214, v21, v214                              // 000000009D50: 0BADAD15
	v_mul_f32_e32 v215, v21, v215                              // 000000009D54: 0BAFAF15
	v_mul_f32_e32 v216, v24, v216                              // 000000009D58: 0BB1B118
	v_mul_f32_e32 v217, v24, v217                              // 000000009D5C: 0BB3B318
	v_mul_f32_e32 v218, v24, v218                              // 000000009D60: 0BB5B518
	v_mul_f32_e32 v219, v24, v219                              // 000000009D64: 0BB7B718
	v_mul_f32_dpp v216, v13, v216 row_newbcast:4 row_mask:0xf bank_mask:0xf// 000000009D68: 0BB1B0FA FF01540D
	v_mul_f32_dpp v217, v13, v217 row_newbcast:5 row_mask:0xf bank_mask:0xf// 000000009D70: 0BB3B2FA FF01550D
	v_mul_f32_dpp v218, v13, v218 row_newbcast:6 row_mask:0xf bank_mask:0xf// 000000009D78: 0BB5B4FA FF01560D
	v_mul_f32_dpp v219, v13, v219 row_newbcast:7 row_mask:0xf bank_mask:0xf// 000000009D80: 0BB7B6FA FF01570D
	v_mul_f32_e32 v216, v20, v216                              // 000000009D88: 0BB1B114
	v_mul_f32_e32 v217, v20, v217                              // 000000009D8C: 0BB3B314
	v_mul_f32_e32 v218, v20, v218                              // 000000009D90: 0BB5B514
	v_mul_f32_e32 v219, v20, v219                              // 000000009D94: 0BB7B714
	v_mul_f32_e32 v220, v25, v220                              // 000000009D98: 0BB9B919
	v_mul_f32_e32 v221, v25, v221                              // 000000009D9C: 0BBBBB19
	v_mul_f32_e32 v222, v25, v222                              // 000000009DA0: 0BBDBD19
	v_mul_f32_e32 v223, v25, v223                              // 000000009DA4: 0BBFBF19
	v_mul_f32_dpp v220, v13, v220 row_newbcast:4 row_mask:0xf bank_mask:0xf// 000000009DA8: 0BB9B8FA FF01540D
	v_mul_f32_dpp v221, v13, v221 row_newbcast:5 row_mask:0xf bank_mask:0xf// 000000009DB0: 0BBBBAFA FF01550D
	v_mul_f32_dpp v222, v13, v222 row_newbcast:6 row_mask:0xf bank_mask:0xf// 000000009DB8: 0BBDBCFA FF01560D
	v_mul_f32_dpp v223, v13, v223 row_newbcast:7 row_mask:0xf bank_mask:0xf// 000000009DC0: 0BBFBEFA FF01570D
	v_mul_f32_e32 v220, v21, v220                              // 000000009DC8: 0BB9B915
	v_mul_f32_e32 v221, v21, v221                              // 000000009DCC: 0BBBBB15
	v_mul_f32_e32 v222, v21, v222                              // 000000009DD0: 0BBDBD15
	v_mul_f32_e32 v223, v21, v223                              // 000000009DD4: 0BBFBF15
	v_mul_f32_e32 v224, v24, v224                              // 000000009DD8: 0BC1C118
	v_mul_f32_e32 v225, v24, v225                              // 000000009DDC: 0BC3C318
	v_mul_f32_e32 v226, v24, v226                              // 000000009DE0: 0BC5C518
	v_mul_f32_e32 v227, v24, v227                              // 000000009DE4: 0BC7C718
	v_mul_f32_dpp v224, v13, v224 row_newbcast:8 row_mask:0xf bank_mask:0xf// 000000009DE8: 0BC1C0FA FF01580D
	v_mul_f32_dpp v225, v13, v225 row_newbcast:9 row_mask:0xf bank_mask:0xf// 000000009DF0: 0BC3C2FA FF01590D
	v_mul_f32_dpp v226, v13, v226 row_newbcast:10 row_mask:0xf bank_mask:0xf// 000000009DF8: 0BC5C4FA FF015A0D
	v_mul_f32_dpp v227, v13, v227 row_newbcast:11 row_mask:0xf bank_mask:0xf// 000000009E00: 0BC7C6FA FF015B0D
	v_mul_f32_e32 v224, v20, v224                              // 000000009E08: 0BC1C114
	v_mul_f32_e32 v225, v20, v225                              // 000000009E0C: 0BC3C314
	v_mul_f32_e32 v226, v20, v226                              // 000000009E10: 0BC5C514
	v_mul_f32_e32 v227, v20, v227                              // 000000009E14: 0BC7C714
	v_mul_f32_e32 v228, v25, v228                              // 000000009E18: 0BC9C919
	v_mul_f32_e32 v229, v25, v229                              // 000000009E1C: 0BCBCB19
	v_mul_f32_e32 v230, v25, v230                              // 000000009E20: 0BCDCD19
	v_mul_f32_e32 v231, v25, v231                              // 000000009E24: 0BCFCF19
	v_mul_f32_dpp v228, v13, v228 row_newbcast:8 row_mask:0xf bank_mask:0xf// 000000009E28: 0BC9C8FA FF01580D
	v_mul_f32_dpp v229, v13, v229 row_newbcast:9 row_mask:0xf bank_mask:0xf// 000000009E30: 0BCBCAFA FF01590D
	v_mul_f32_dpp v230, v13, v230 row_newbcast:10 row_mask:0xf bank_mask:0xf// 000000009E38: 0BCDCCFA FF015A0D
	v_mul_f32_dpp v231, v13, v231 row_newbcast:11 row_mask:0xf bank_mask:0xf// 000000009E40: 0BCFCEFA FF015B0D
	v_mul_f32_e32 v228, v21, v228                              // 000000009E48: 0BC9C915
	v_mul_f32_e32 v229, v21, v229                              // 000000009E4C: 0BCBCB15
	v_mul_f32_e32 v230, v21, v230                              // 000000009E50: 0BCDCD15
	v_mul_f32_e32 v231, v21, v231                              // 000000009E54: 0BCFCF15
	v_mul_f32_e32 v232, v24, v232                              // 000000009E58: 0BD1D118
	v_mul_f32_e32 v233, v24, v233                              // 000000009E5C: 0BD3D318
	v_mul_f32_e32 v234, v24, v234                              // 000000009E60: 0BD5D518
	v_mul_f32_e32 v235, v24, v235                              // 000000009E64: 0BD7D718
	v_mul_f32_dpp v232, v13, v232 row_newbcast:12 row_mask:0xf bank_mask:0xf// 000000009E68: 0BD1D0FA FF015C0D
	v_mul_f32_dpp v233, v13, v233 row_newbcast:13 row_mask:0xf bank_mask:0xf// 000000009E70: 0BD3D2FA FF015D0D
	v_mul_f32_dpp v234, v13, v234 row_newbcast:14 row_mask:0xf bank_mask:0xf// 000000009E78: 0BD5D4FA FF015E0D
	v_mul_f32_dpp v235, v13, v235 row_newbcast:15 row_mask:0xf bank_mask:0xf// 000000009E80: 0BD7D6FA FF015F0D
	v_mul_f32_e32 v232, v20, v232                              // 000000009E88: 0BD1D114
	v_mul_f32_e32 v233, v20, v233                              // 000000009E8C: 0BD3D314
	v_mul_f32_e32 v234, v20, v234                              // 000000009E90: 0BD5D514
	v_mul_f32_e32 v235, v20, v235                              // 000000009E94: 0BD7D714
	v_mul_f32_e32 v236, v25, v236                              // 000000009E98: 0BD9D919
	v_mul_f32_e32 v237, v25, v237                              // 000000009E9C: 0BDBDB19
	v_mul_f32_e32 v238, v25, v238                              // 000000009EA0: 0BDDDD19
	v_mul_f32_e32 v239, v25, v239                              // 000000009EA4: 0BDFDF19
	v_mul_f32_dpp v236, v13, v236 row_newbcast:12 row_mask:0xf bank_mask:0xf// 000000009EA8: 0BD9D8FA FF015C0D
	v_mul_f32_dpp v237, v13, v237 row_newbcast:13 row_mask:0xf bank_mask:0xf// 000000009EB0: 0BDBDAFA FF015D0D
	v_mul_f32_dpp v238, v13, v238 row_newbcast:14 row_mask:0xf bank_mask:0xf// 000000009EB8: 0BDDDCFA FF015E0D
	v_mul_f32_dpp v239, v13, v239 row_newbcast:15 row_mask:0xf bank_mask:0xf// 000000009EC0: 0BDFDEFA FF015F0D
	v_mul_f32_e32 v236, v21, v236                              // 000000009EC8: 0BD9D915
	v_mul_f32_e32 v237, v21, v237                              // 000000009ECC: 0BDBDB15
	v_mul_f32_e32 v238, v21, v238                              // 000000009ED0: 0BDDDD15
	v_mul_f32_e32 v239, v21, v239                              // 000000009ED4: 0BDFDF15
	v_cvt_pkrtz_f16_f32 v208, v208, v209                       // 000000009ED8: D29600D0 0003A3D0
	v_cvt_pkrtz_f16_f32 v209, v210, v211                       // 000000009EE0: D29600D1 0003A7D2
	v_cvt_pkrtz_f16_f32 v210, v212, v213                       // 000000009EE8: D29600D2 0003ABD4
	v_cvt_pkrtz_f16_f32 v211, v214, v215                       // 000000009EF0: D29600D3 0003AFD6
	v_cvt_pkrtz_f16_f32 v212, v216, v217                       // 000000009EF8: D29600D4 0003B3D8
	v_cvt_pkrtz_f16_f32 v213, v218, v219                       // 000000009F00: D29600D5 0003B7DA
	v_cvt_pkrtz_f16_f32 v214, v220, v221                       // 000000009F08: D29600D6 0003BBDC
	v_cvt_pkrtz_f16_f32 v215, v222, v223                       // 000000009F10: D29600D7 0003BFDE
	v_cvt_pkrtz_f16_f32 v216, v224, v225                       // 000000009F18: D29600D8 0003C3E0
	v_cvt_pkrtz_f16_f32 v217, v226, v227                       // 000000009F20: D29600D9 0003C7E2
	v_cvt_pkrtz_f16_f32 v218, v228, v229                       // 000000009F28: D29600DA 0003CBE4
	v_cvt_pkrtz_f16_f32 v219, v230, v231                       // 000000009F30: D29600DB 0003CFE6
	v_cvt_pkrtz_f16_f32 v220, v232, v233                       // 000000009F38: D29600DC 0003D3E8
	v_cvt_pkrtz_f16_f32 v221, v234, v235                       // 000000009F40: D29600DD 0003D7EA
	v_cvt_pkrtz_f16_f32 v222, v236, v237                       // 000000009F48: D29600DE 0003DBEC
	v_cvt_pkrtz_f16_f32 v223, v238, v239                       // 000000009F50: D29600DF 0003DFEE
	ds_write_b64 v3, v[208:209] offset:30976                   // 000000009F58: D89A7900 0000D003
	ds_write_b64 v3, v[210:211] offset:39680                   // 000000009F60: D89A9B00 0000D203
	ds_write_b64 v3, v[212:213] offset:33152                   // 000000009F68: D89A8180 0000D403
	ds_write_b64 v3, v[214:215] offset:41856                   // 000000009F70: D89AA380 0000D603
	ds_write_b64 v3, v[216:217] offset:35328                   // 000000009F78: D89A8A00 0000D803
	ds_write_b64 v3, v[218:219] offset:44032                   // 000000009F80: D89AAC00 0000DA03
	ds_write_b64 v3, v[220:221] offset:37504                   // 000000009F88: D89A9280 0000DC03
	ds_write_b64 v3, v[222:223] offset:46208                   // 000000009F90: D89AB480 0000DE03
	s_waitcnt lgkmcnt(0)                                       // 000000009F98: BF8CC07F
	s_barrier                                                  // 000000009F9C: BF8A0000
	ds_read_b32 v64, v4 offset:30976                           // 000000009FA0: D86C7900 40000004
	ds_read_b32 v65, v4 offset:35328                           // 000000009FA8: D86C8A00 41000004
	ds_read_b32 v66, v4 offset:31008                           // 000000009FB0: D86C7920 42000004
	ds_read_b32 v67, v4 offset:35360                           // 000000009FB8: D86C8A20 43000004
	ds_read_b32 v68, v4 offset:31040                           // 000000009FC0: D86C7940 44000004
	ds_read_b32 v69, v4 offset:35392                           // 000000009FC8: D86C8A40 45000004
	ds_read_b32 v70, v4 offset:31072                           // 000000009FD0: D86C7960 46000004
	ds_read_b32 v71, v4 offset:35424                           // 000000009FD8: D86C8A60 47000004
	ds_read_b32 v72, v4 offset:39680                           // 000000009FE0: D86C9B00 48000004
	ds_read_b32 v73, v4 offset:44032                           // 000000009FE8: D86CAC00 49000004
	ds_read_b32 v74, v4 offset:39712                           // 000000009FF0: D86C9B20 4A000004
	ds_read_b32 v75, v4 offset:44064                           // 000000009FF8: D86CAC20 4B000004
	ds_read_b32 v76, v4 offset:39744                           // 00000000A000: D86C9B40 4C000004
	ds_read_b32 v77, v4 offset:44096                           // 00000000A008: D86CAC40 4D000004
	ds_read_b32 v78, v4 offset:39776                           // 00000000A010: D86C9B60 4E000004
	ds_read_b32 v79, v4 offset:44128                           // 00000000A018: D86CAC60 4F000004
	s_waitcnt lgkmcnt(0)                                       // 00000000A020: BF8CC07F
	s_mov_b64 exec, s[20:21]                                   // 00000000A024: BEFE0114
	global_atomic_pk_add_f16 v80, v64, s[8:9]                  // 00000000A028: DD388000 00084050
	s_mov_b64 exec, s[36:37]                                   // 00000000A030: BEFE0124
	s_mov_b64 exec, s[20:21]                                   // 00000000A034: BEFE0114
	global_atomic_pk_add_f16 v80, v65, s[8:9] offset:256       // 00000000A038: DD388100 00084150
	s_mov_b64 exec, s[36:37]                                   // 00000000A040: BEFE0124
	s_mov_b64 exec, s[22:23]                                   // 00000000A044: BEFE0116
	global_atomic_pk_add_f16 v82, v66, s[8:9]                  // 00000000A048: DD388000 00084252
	s_mov_b64 exec, s[36:37]                                   // 00000000A050: BEFE0124
	s_mov_b64 exec, s[22:23]                                   // 00000000A054: BEFE0116
	global_atomic_pk_add_f16 v82, v67, s[8:9] offset:256       // 00000000A058: DD388100 00084352
	s_mov_b64 exec, s[36:37]                                   // 00000000A060: BEFE0124
	s_mov_b64 exec, s[24:25]                                   // 00000000A064: BEFE0118
	global_atomic_pk_add_f16 v84, v68, s[8:9]                  // 00000000A068: DD388000 00084454
	s_mov_b64 exec, s[36:37]                                   // 00000000A070: BEFE0124
	s_mov_b64 exec, s[24:25]                                   // 00000000A074: BEFE0118
	global_atomic_pk_add_f16 v84, v69, s[8:9] offset:256       // 00000000A078: DD388100 00084554
	s_mov_b64 exec, s[36:37]                                   // 00000000A080: BEFE0124
	s_mov_b64 exec, s[26:27]                                   // 00000000A084: BEFE011A
	global_atomic_pk_add_f16 v86, v70, s[8:9]                  // 00000000A088: DD388000 00084656
	s_mov_b64 exec, s[36:37]                                   // 00000000A090: BEFE0124
	s_mov_b64 exec, s[26:27]                                   // 00000000A094: BEFE011A
	global_atomic_pk_add_f16 v86, v71, s[8:9] offset:256       // 00000000A098: DD388100 00084756
	s_mov_b64 exec, s[36:37]                                   // 00000000A0A0: BEFE0124
	s_mov_b64 exec, s[28:29]                                   // 00000000A0A4: BEFE011C
	global_atomic_pk_add_f16 v88, v72, s[8:9]                  // 00000000A0A8: DD388000 00084858
	s_mov_b64 exec, s[36:37]                                   // 00000000A0B0: BEFE0124
	s_mov_b64 exec, s[28:29]                                   // 00000000A0B4: BEFE011C
	global_atomic_pk_add_f16 v88, v73, s[8:9] offset:256       // 00000000A0B8: DD388100 00084958
	s_mov_b64 exec, s[36:37]                                   // 00000000A0C0: BEFE0124
	s_mov_b64 exec, s[30:31]                                   // 00000000A0C4: BEFE011E
	global_atomic_pk_add_f16 v90, v74, s[8:9]                  // 00000000A0C8: DD388000 00084A5A
	s_mov_b64 exec, s[36:37]                                   // 00000000A0D0: BEFE0124
	s_mov_b64 exec, s[30:31]                                   // 00000000A0D4: BEFE011E
	global_atomic_pk_add_f16 v90, v75, s[8:9] offset:256       // 00000000A0D8: DD388100 00084B5A
	s_mov_b64 exec, s[36:37]                                   // 00000000A0E0: BEFE0124
	s_mov_b64 exec, s[32:33]                                   // 00000000A0E4: BEFE0120
	global_atomic_pk_add_f16 v92, v76, s[8:9]                  // 00000000A0E8: DD388000 00084C5C
	s_mov_b64 exec, s[36:37]                                   // 00000000A0F0: BEFE0124
	s_mov_b64 exec, s[32:33]                                   // 00000000A0F4: BEFE0120
	global_atomic_pk_add_f16 v92, v77, s[8:9] offset:256       // 00000000A0F8: DD388100 00084D5C
	s_mov_b64 exec, s[36:37]                                   // 00000000A100: BEFE0124
	s_mov_b64 exec, s[34:35]                                   // 00000000A104: BEFE0122
	global_atomic_pk_add_f16 v94, v78, s[8:9]                  // 00000000A108: DD388000 00084E5E
	s_mov_b64 exec, s[36:37]                                   // 00000000A110: BEFE0124
	s_mov_b64 exec, s[34:35]                                   // 00000000A114: BEFE0122
	global_atomic_pk_add_f16 v94, v79, s[8:9] offset:256       // 00000000A118: DD388100 00084F5E
	s_mov_b64 exec, s[36:37]                                   // 00000000A120: BEFE0124
	s_add_u32 s8, s59, s8                                      // 00000000A124: 8008083B
	s_addc_u32 s9, 0, s9                                       // 00000000A128: 82090980
	s_addk_i32 s80, 0x100                                      // 00000000A12C: B7500100
	s_cmp_lt_i32 s80, s81                                      // 00000000A130: BF045150
	s_cbranch_scc0 label_0FC8                                  // 00000000A134: BF84F2FA
	s_branch label_1884                                        // 00000000A138: BF82FBB5

000000000000a13c <label_1CCF>:
	s_waitcnt vmcnt(0) expcnt(0) lgkmcnt(0)                    // 00000000A13C: BF8C0000
	s_add_u32 s100, s100, 1                                    // 00000000A140: 80648164
	s_cmp_eq_u32 s96, 0                                        // 00000000A144: BF068060
	s_cbranch_scc0 label_0039                                  // 00000000A148: BF84E366

000000000000a14c <label_1CD3>:
	s_waitcnt vmcnt(0) expcnt(0) lgkmcnt(0)                    // 00000000A14C: BF8C0000
	s_endpgm                                                   // 00000000A150: BF810000
